;; amdgpu-corpus repo=ROCm/rocFFT kind=compiled arch=gfx906 opt=O3
	.text
	.amdgcn_target "amdgcn-amd-amdhsa--gfx906"
	.amdhsa_code_object_version 6
	.protected	bluestein_single_back_len1001_dim1_sp_op_CI_CI ; -- Begin function bluestein_single_back_len1001_dim1_sp_op_CI_CI
	.globl	bluestein_single_back_len1001_dim1_sp_op_CI_CI
	.p2align	8
	.type	bluestein_single_back_len1001_dim1_sp_op_CI_CI,@function
bluestein_single_back_len1001_dim1_sp_op_CI_CI: ; @bluestein_single_back_len1001_dim1_sp_op_CI_CI
; %bb.0:
	s_load_dwordx4 s[0:3], s[4:5], 0x28
	v_mul_u32_u24_e32 v1, 0x2d1, v0
	v_lshrrev_b32_e32 v1, 16, v1
	v_lshl_add_u32 v80, s6, 1, v1
	v_mov_b32_e32 v81, 0
	s_waitcnt lgkmcnt(0)
	v_cmp_gt_u64_e32 vcc, s[0:1], v[80:81]
	s_and_saveexec_b64 s[0:1], vcc
	s_cbranch_execz .LBB0_23
; %bb.1:
	s_load_dwordx2 s[10:11], s[4:5], 0x0
	s_load_dwordx2 s[8:9], s[4:5], 0x38
	v_mul_lo_u16_e32 v2, 0x5b, v1
	v_sub_u16_e32 v85, v0, v2
	v_and_b32_e32 v0, 1, v1
	v_mov_b32_e32 v1, 0x3e9
	v_cmp_eq_u32_e32 vcc, 1, v0
	v_cndmask_b32_e32 v52, 0, v1, vcc
	s_movk_i32 s0, 0x4d
	v_cmp_gt_u16_e64 s[0:1], s0, v85
	v_lshlrev_b32_e32 v86, 3, v85
	v_lshlrev_b32_e32 v87, 3, v52
	s_and_saveexec_b64 s[6:7], s[0:1]
	s_cbranch_execz .LBB0_3
; %bb.2:
	s_load_dwordx2 s[12:13], s[4:5], 0x18
	s_waitcnt lgkmcnt(0)
	s_load_dwordx4 s[12:15], s[12:13], 0x0
	s_waitcnt lgkmcnt(0)
	v_mad_u64_u32 v[0:1], s[16:17], s14, v80, 0
	v_mad_u64_u32 v[2:3], s[16:17], s12, v85, 0
	v_mad_u64_u32 v[4:5], s[14:15], s15, v80, v[1:2]
	v_mad_u64_u32 v[5:6], s[14:15], s13, v85, v[3:4]
	v_mov_b32_e32 v1, v4
	v_lshlrev_b64 v[0:1], 3, v[0:1]
	v_mov_b32_e32 v3, v5
	v_mov_b32_e32 v6, s3
	v_lshlrev_b64 v[2:3], 3, v[2:3]
	v_add_co_u32_e32 v0, vcc, s2, v0
	v_addc_co_u32_e32 v1, vcc, v6, v1, vcc
	v_add_co_u32_e32 v0, vcc, v0, v2
	v_addc_co_u32_e32 v1, vcc, v1, v3, vcc
	v_mov_b32_e32 v2, s11
	v_add_co_u32_e32 v32, vcc, s10, v86
	s_mul_i32 s2, s13, 0x268
	s_mul_hi_u32 s3, s12, 0x268
	v_addc_co_u32_e32 v33, vcc, 0, v2, vcc
	s_add_i32 s2, s3, s2
	s_mul_i32 s3, s12, 0x268
	v_mov_b32_e32 v3, s2
	v_add_co_u32_e32 v2, vcc, s3, v0
	v_addc_co_u32_e32 v3, vcc, v1, v3, vcc
	v_mov_b32_e32 v5, s2
	v_add_co_u32_e32 v4, vcc, s3, v2
	v_addc_co_u32_e32 v5, vcc, v3, v5, vcc
	;; [unrolled: 3-line block ×3, first 2 shown]
	global_load_dwordx2 v[8:9], v[0:1], off
	global_load_dwordx2 v[10:11], v[2:3], off
	;; [unrolled: 1-line block ×4, first 2 shown]
	global_load_dwordx2 v[16:17], v86, s[10:11]
	global_load_dwordx2 v[18:19], v86, s[10:11] offset:616
	global_load_dwordx2 v[20:21], v86, s[10:11] offset:1232
	;; [unrolled: 1-line block ×3, first 2 shown]
	v_mov_b32_e32 v1, s2
	v_add_co_u32_e32 v0, vcc, s3, v6
	v_addc_co_u32_e32 v1, vcc, v7, v1, vcc
	global_load_dwordx2 v[2:3], v[0:1], off
	v_mov_b32_e32 v4, s2
	v_add_co_u32_e32 v0, vcc, s3, v0
	v_addc_co_u32_e32 v1, vcc, v1, v4, vcc
	global_load_dwordx2 v[4:5], v[0:1], off
	;; [unrolled: 4-line block ×3, first 2 shown]
	global_load_dwordx2 v[24:25], v86, s[10:11] offset:2464
	global_load_dwordx2 v[26:27], v86, s[10:11] offset:3080
	global_load_dwordx2 v[28:29], v86, s[10:11] offset:3696
	v_mov_b32_e32 v30, s2
	v_add_co_u32_e32 v0, vcc, s3, v0
	v_addc_co_u32_e32 v1, vcc, v1, v30, vcc
	s_movk_i32 s12, 0x1000
	v_add_co_u32_e32 v32, vcc, s12, v32
	v_addc_co_u32_e32 v33, vcc, 0, v33, vcc
	global_load_dwordx2 v[30:31], v[0:1], off
	v_mov_b32_e32 v34, s2
	v_add_co_u32_e32 v0, vcc, s3, v0
	v_addc_co_u32_e32 v1, vcc, v1, v34, vcc
	global_load_dwordx2 v[34:35], v[0:1], off
	global_load_dwordx2 v[36:37], v[32:33], off offset:216
	global_load_dwordx2 v[38:39], v[32:33], off offset:832
	v_mov_b32_e32 v40, s2
	v_add_co_u32_e32 v0, vcc, s3, v0
	v_addc_co_u32_e32 v1, vcc, v1, v40, vcc
	global_load_dwordx2 v[40:41], v[0:1], off
	v_mov_b32_e32 v42, s2
	v_add_co_u32_e32 v0, vcc, s3, v0
	v_addc_co_u32_e32 v1, vcc, v1, v42, vcc
	global_load_dwordx2 v[42:43], v[0:1], off
	global_load_dwordx2 v[44:45], v[32:33], off offset:1448
	global_load_dwordx2 v[46:47], v[32:33], off offset:2064
	v_mov_b32_e32 v48, s2
	v_add_co_u32_e32 v0, vcc, s3, v0
	v_addc_co_u32_e32 v1, vcc, v1, v48, vcc
	global_load_dwordx2 v[48:49], v[0:1], off
	global_load_dwordx2 v[50:51], v[32:33], off offset:2680
	v_mov_b32_e32 v53, s2
	v_add_co_u32_e32 v0, vcc, s3, v0
	v_addc_co_u32_e32 v1, vcc, v1, v53, vcc
	global_load_dwordx2 v[53:54], v[0:1], off
	global_load_dwordx2 v[55:56], v[32:33], off offset:3296
	v_lshl_add_u32 v32, v85, 3, v87
	s_waitcnt vmcnt(21)
	v_mul_f32_e32 v0, v9, v17
	v_mul_f32_e32 v1, v8, v17
	v_fmac_f32_e32 v0, v8, v16
	v_fma_f32 v1, v9, v16, -v1
	ds_write_b64 v32, v[0:1]
	s_waitcnt vmcnt(20)
	v_mul_f32_e32 v0, v11, v19
	v_mul_f32_e32 v1, v10, v19
	s_waitcnt vmcnt(19)
	v_mul_f32_e32 v8, v13, v21
	v_mul_f32_e32 v9, v12, v21
	v_fmac_f32_e32 v0, v10, v18
	v_add_u32_e32 v16, v87, v86
	v_fma_f32 v1, v11, v18, -v1
	v_fmac_f32_e32 v8, v12, v20
	v_fma_f32 v9, v13, v20, -v9
	ds_write2_b64 v16, v[0:1], v[8:9] offset0:77 offset1:154
	s_waitcnt vmcnt(18)
	v_mul_f32_e32 v0, v15, v23
	v_mul_f32_e32 v1, v14, v23
	v_fmac_f32_e32 v0, v14, v22
	v_fma_f32 v1, v15, v22, -v1
	s_waitcnt vmcnt(14)
	v_mul_f32_e32 v8, v3, v25
	v_fmac_f32_e32 v8, v2, v24
	v_mul_f32_e32 v2, v2, v25
	v_fma_f32 v9, v3, v24, -v2
	v_add_u32_e32 v2, 0x400, v16
	ds_write2_b64 v2, v[0:1], v[8:9] offset0:103 offset1:180
	s_waitcnt vmcnt(13)
	v_mul_f32_e32 v0, v5, v27
	v_mul_f32_e32 v1, v4, v27
	s_waitcnt vmcnt(12)
	v_mul_f32_e32 v2, v7, v29
	v_mul_f32_e32 v3, v6, v29
	v_fmac_f32_e32 v0, v4, v26
	v_fma_f32 v1, v5, v26, -v1
	v_fmac_f32_e32 v2, v6, v28
	v_fma_f32 v3, v7, v28, -v3
	v_add_u32_e32 v4, 0x800, v16
	ds_write2_b64 v4, v[0:1], v[2:3] offset0:129 offset1:206
	v_add_u32_e32 v4, 0x1000, v16
	s_waitcnt vmcnt(9)
	v_mul_f32_e32 v0, v31, v37
	v_mul_f32_e32 v1, v30, v37
	s_waitcnt vmcnt(8)
	v_mul_f32_e32 v2, v35, v39
	v_mul_f32_e32 v3, v34, v39
	v_fmac_f32_e32 v0, v30, v36
	v_fma_f32 v1, v31, v36, -v1
	v_fmac_f32_e32 v2, v34, v38
	v_fma_f32 v3, v35, v38, -v3
	ds_write2_b64 v4, v[0:1], v[2:3] offset0:27 offset1:104
	v_add_u32_e32 v4, 0x1400, v16
	s_waitcnt vmcnt(5)
	v_mul_f32_e32 v0, v41, v45
	v_mul_f32_e32 v1, v40, v45
	s_waitcnt vmcnt(4)
	v_mul_f32_e32 v2, v43, v47
	v_mul_f32_e32 v3, v42, v47
	v_fmac_f32_e32 v0, v40, v44
	v_fma_f32 v1, v41, v44, -v1
	v_fmac_f32_e32 v2, v42, v46
	v_fma_f32 v3, v43, v46, -v3
	ds_write2_b64 v4, v[0:1], v[2:3] offset0:53 offset1:130
	s_waitcnt vmcnt(2)
	v_mul_f32_e32 v0, v49, v51
	v_mul_f32_e32 v1, v48, v51
	v_fmac_f32_e32 v0, v48, v50
	v_fma_f32 v1, v49, v50, -v1
	s_waitcnt vmcnt(0)
	v_mul_f32_e32 v2, v54, v56
	v_mul_f32_e32 v3, v53, v56
	v_fmac_f32_e32 v2, v53, v55
	v_fma_f32 v3, v54, v55, -v3
	v_add_u32_e32 v4, 0x1800, v16
	ds_write2_b64 v4, v[0:1], v[2:3] offset0:79 offset1:156
.LBB0_3:
	s_or_b64 exec, exec, s[6:7]
	v_mov_b32_e32 v0, 0
	v_mov_b32_e32 v1, 0
	s_waitcnt lgkmcnt(0)
	s_barrier
	s_waitcnt lgkmcnt(0)
                                        ; implicit-def: $vgpr20
                                        ; implicit-def: $vgpr26
                                        ; implicit-def: $vgpr18
                                        ; implicit-def: $vgpr14
                                        ; implicit-def: $vgpr10
                                        ; implicit-def: $vgpr6
	s_and_saveexec_b64 s[2:3], s[0:1]
	s_cbranch_execz .LBB0_5
; %bb.4:
	v_lshl_add_u32 v24, v52, 3, v86
	v_add_u32_e32 v8, 0x800, v24
	v_add_u32_e32 v12, 0xc00, v24
	v_add_u32_e32 v16, 0x1000, v24
	v_add_u32_e32 v20, 0x1800, v24
	ds_read2_b64 v[0:3], v24 offset1:77
	ds_read2_b64 v[4:7], v24 offset0:154 offset1:231
	ds_read2_b64 v[8:11], v8 offset0:52 offset1:129
	;; [unrolled: 1-line block ×5, first 2 shown]
	ds_read_b64 v[26:27], v24 offset:7392
.LBB0_5:
	s_or_b64 exec, exec, s[2:3]
	s_waitcnt lgkmcnt(0)
	v_sub_f32_e32 v43, v3, v27
	v_mul_f32_e32 v30, 0xbf52af12, v43
	v_add_f32_e32 v56, v26, v2
	v_sub_f32_e32 v42, v2, v26
	v_mov_b32_e32 v32, v30
	v_add_f32_e32 v57, v27, v3
	s_mov_b32 s3, 0x3f116cb1
	v_mul_f32_e32 v31, 0xbf52af12, v42
	v_fmac_f32_e32 v32, 0x3f116cb1, v56
	v_mul_f32_e32 v28, 0xbeedf032, v43
	v_add_f32_e32 v36, v32, v0
	v_fma_f32 v32, v57, s3, -v31
	v_sub_f32_e32 v117, v5, v23
	v_mov_b32_e32 v24, v28
	v_add_f32_e32 v37, v32, v1
	v_mul_f32_e32 v32, 0xbf52af12, v117
	s_mov_b32 s6, 0x3f62ad3f
	v_mul_f32_e32 v29, 0xbeedf032, v42
	v_fmac_f32_e32 v24, 0x3f62ad3f, v56
	v_add_f32_e32 v61, v22, v4
	v_sub_f32_e32 v90, v4, v22
	v_mov_b32_e32 v34, v32
	v_add_f32_e32 v24, v24, v0
	v_fma_f32 v25, v57, s6, -v29
	v_add_f32_e32 v62, v23, v5
	v_mul_f32_e32 v33, 0xbf52af12, v90
	v_fmac_f32_e32 v34, 0x3f116cb1, v61
	v_add_f32_e32 v25, v25, v1
	v_add_f32_e32 v24, v34, v24
	v_fma_f32 v34, v62, s3, -v33
	v_add_f32_e32 v25, v34, v25
	v_mul_f32_e32 v34, 0xbf6f5d39, v117
	v_mov_b32_e32 v38, v34
	s_mov_b32 s7, 0xbeb58ec6
	v_mul_f32_e32 v35, 0xbf6f5d39, v90
	v_fmac_f32_e32 v38, 0xbeb58ec6, v61
	v_add_f32_e32 v38, v38, v36
	v_fma_f32 v36, v62, s7, -v35
	v_sub_f32_e32 v118, v7, v21
	v_add_f32_e32 v39, v36, v37
	v_mul_f32_e32 v36, 0xbf7e222b, v118
	v_add_f32_e32 v65, v20, v6
	v_sub_f32_e32 v119, v6, v20
	v_mov_b32_e32 v40, v36
	s_mov_b32 s2, 0x3df6dbef
	v_add_f32_e32 v66, v21, v7
	v_mul_f32_e32 v37, 0xbf7e222b, v119
	v_fmac_f32_e32 v40, 0x3df6dbef, v65
	v_add_f32_e32 v24, v40, v24
	v_fma_f32 v40, v66, s2, -v37
	v_mul_f32_e32 v48, 0xbe750f2a, v118
	v_add_f32_e32 v25, v40, v25
	v_mov_b32_e32 v40, v48
	s_mov_b32 s13, 0xbf788fa5
	v_mul_f32_e32 v49, 0xbe750f2a, v119
	v_fmac_f32_e32 v40, 0xbf788fa5, v65
	v_sub_f32_e32 v123, v9, v19
	v_add_f32_e32 v38, v40, v38
	v_fma_f32 v40, v66, s13, -v49
	v_mul_f32_e32 v50, 0xbf6f5d39, v123
	v_add_f32_e32 v39, v40, v39
	v_add_f32_e32 v69, v18, v8
	v_sub_f32_e32 v121, v8, v18
	v_mov_b32_e32 v40, v50
	v_add_f32_e32 v70, v19, v9
	v_mul_f32_e32 v51, 0xbf6f5d39, v121
	v_fmac_f32_e32 v40, 0xbeb58ec6, v69
	v_add_f32_e32 v24, v40, v24
	v_fma_f32 v40, v70, s7, -v51
	v_mul_f32_e32 v53, 0x3f29c268, v123
	v_add_f32_e32 v25, v40, v25
	v_mov_b32_e32 v40, v53
	s_mov_b32 s12, 0xbf3f9e67
	v_mul_f32_e32 v54, 0x3f29c268, v121
	v_fmac_f32_e32 v40, 0xbf3f9e67, v69
	v_sub_f32_e32 v127, v11, v17
	v_add_f32_e32 v38, v40, v38
	v_fma_f32 v40, v70, s12, -v54
	v_mul_f32_e32 v55, 0xbf29c268, v127
	v_add_f32_e32 v39, v40, v39
	v_add_f32_e32 v81, v16, v10
	v_sub_f32_e32 v126, v10, v16
	v_mov_b32_e32 v40, v55
	v_add_f32_e32 v82, v17, v11
	v_mul_f32_e32 v58, 0xbf29c268, v126
	v_fmac_f32_e32 v40, 0xbf3f9e67, v81
	v_sub_f32_e32 v129, v13, v15
	v_add_f32_e32 v24, v40, v24
	v_fma_f32 v40, v82, s12, -v58
	v_mul_f32_e32 v60, 0xbe750f2a, v129
	v_add_f32_e32 v25, v40, v25
	v_add_f32_e32 v89, v14, v12
	v_sub_f32_e32 v128, v12, v14
	v_mov_b32_e32 v40, v60
	v_add_f32_e32 v91, v15, v13
	v_mul_f32_e32 v63, 0xbe750f2a, v128
	v_fmac_f32_e32 v40, 0xbf788fa5, v89
	v_mul_f32_e32 v59, 0x3f7e222b, v127
	v_add_f32_e32 v24, v40, v24
	v_fma_f32 v40, v91, s13, -v63
	v_add_f32_e32 v25, v40, v25
	v_mov_b32_e32 v40, v59
	v_mul_f32_e32 v67, 0x3f7e222b, v126
	v_fmac_f32_e32 v40, 0x3df6dbef, v81
	v_add_f32_e32 v38, v40, v38
	v_fma_f32 v40, v82, s2, -v67
	v_mul_f32_e32 v64, 0x3eedf032, v129
	v_add_f32_e32 v39, v40, v39
	v_mov_b32_e32 v40, v64
	v_fmac_f32_e32 v40, 0x3f62ad3f, v89
	v_mul_f32_e32 v68, 0x3eedf032, v128
	v_add_f32_e32 v38, v40, v38
	v_fma_f32 v40, v91, s6, -v68
	v_mul_f32_e32 v71, 0xbf7e222b, v43
	v_add_f32_e32 v39, v40, v39
	v_mov_b32_e32 v40, v71
	v_mul_f32_e32 v72, 0xbe750f2a, v117
	v_fmac_f32_e32 v40, 0x3df6dbef, v56
	v_mov_b32_e32 v41, v72
	v_add_f32_e32 v40, v40, v0
	v_fmac_f32_e32 v41, 0xbf788fa5, v61
	v_mul_f32_e32 v75, 0xbf7e222b, v42
	v_add_f32_e32 v40, v41, v40
	v_fma_f32 v41, v57, s2, -v75
	v_mul_f32_e32 v77, 0xbe750f2a, v90
	v_add_f32_e32 v41, v41, v1
	v_fma_f32 v44, v62, s13, -v77
	v_mul_f32_e32 v73, 0x3f6f5d39, v118
	v_add_f32_e32 v41, v44, v41
	v_mov_b32_e32 v44, v73
	v_fmac_f32_e32 v44, 0xbeb58ec6, v65
	v_mul_f32_e32 v79, 0x3f6f5d39, v119
	v_add_f32_e32 v40, v44, v40
	v_fma_f32 v44, v66, s7, -v79
	v_mul_f32_e32 v74, 0x3eedf032, v123
	v_add_f32_e32 v41, v44, v41
	v_mov_b32_e32 v44, v74
	v_fmac_f32_e32 v44, 0x3f62ad3f, v69
	;; [unrolled: 7-line block ×4, first 2 shown]
	v_mul_f32_e32 v88, 0xbf29c268, v128
	v_add_f32_e32 v40, v44, v40
	v_fma_f32 v44, v91, s12, -v88
	v_mul_f32_e32 v92, 0xbf6f5d39, v43
	v_add_f32_e32 v41, v44, v41
	v_mov_b32_e32 v44, v92
	v_mul_f32_e32 v93, 0x3f29c268, v117
	v_fmac_f32_e32 v44, 0xbeb58ec6, v56
	v_mov_b32_e32 v45, v93
	v_add_f32_e32 v44, v44, v0
	v_fmac_f32_e32 v45, 0xbf3f9e67, v61
	v_mul_f32_e32 v96, 0xbf6f5d39, v42
	v_add_f32_e32 v44, v45, v44
	v_fma_f32 v45, v57, s7, -v96
	v_mul_f32_e32 v98, 0x3f29c268, v90
	v_add_f32_e32 v45, v45, v1
	v_fma_f32 v46, v62, s12, -v98
	v_mul_f32_e32 v94, 0x3eedf032, v118
	v_add_f32_e32 v45, v46, v45
	v_mov_b32_e32 v46, v94
	v_fmac_f32_e32 v46, 0x3f62ad3f, v65
	v_mul_f32_e32 v100, 0x3eedf032, v119
	v_add_f32_e32 v44, v46, v44
	v_fma_f32 v46, v66, s6, -v100
	v_mul_f32_e32 v95, 0xbf7e222b, v123
	v_add_f32_e32 v45, v46, v45
	v_mov_b32_e32 v46, v95
	v_fmac_f32_e32 v46, 0x3df6dbef, v69
	;; [unrolled: 7-line block ×4, first 2 shown]
	v_mul_f32_e32 v103, 0x3f52af12, v128
	v_add_f32_e32 v44, v46, v44
	v_fma_f32 v46, v91, s3, -v103
	v_mul_f32_e32 v104, 0xbf29c268, v43
	v_add_f32_e32 v45, v46, v45
	v_mov_b32_e32 v46, v104
	v_mul_f32_e32 v105, 0x3f7e222b, v117
	v_fmac_f32_e32 v46, 0xbf3f9e67, v56
	v_mov_b32_e32 v47, v105
	v_add_f32_e32 v46, v46, v0
	v_fmac_f32_e32 v47, 0x3df6dbef, v61
	v_mul_f32_e32 v108, 0xbf29c268, v42
	v_add_f32_e32 v46, v47, v46
	v_fma_f32 v47, v57, s12, -v108
	v_mul_f32_e32 v110, 0x3f7e222b, v90
	v_add_f32_e32 v47, v47, v1
	v_fma_f32 v106, v62, s2, -v110
	v_add_f32_e32 v47, v106, v47
	v_mul_f32_e32 v106, 0xbf52af12, v118
	v_mov_b32_e32 v107, v106
	v_fmac_f32_e32 v107, 0x3f116cb1, v65
	v_mul_f32_e32 v112, 0xbf52af12, v119
	v_add_f32_e32 v46, v107, v46
	v_fma_f32 v107, v66, s3, -v112
	v_add_f32_e32 v47, v107, v47
	v_mul_f32_e32 v107, 0x3e750f2a, v123
	v_mov_b32_e32 v109, v107
	v_fmac_f32_e32 v109, 0xbf788fa5, v69
	;; [unrolled: 7-line block ×4, first 2 shown]
	v_add_f32_e32 v46, v115, v46
	v_mul_f32_e32 v115, 0xbf6f5d39, v128
	v_fma_f32 v116, v91, s7, -v115
	v_add_f32_e32 v47, v116, v47
	v_mul_f32_e32 v116, 0xbe750f2a, v43
	v_mov_b32_e32 v43, v116
	v_mul_f32_e32 v117, 0x3eedf032, v117
	v_fmac_f32_e32 v43, 0xbf788fa5, v56
	v_mov_b32_e32 v120, v117
	v_add_f32_e32 v43, v43, v0
	v_fmac_f32_e32 v120, 0x3f62ad3f, v61
	v_add_f32_e32 v43, v120, v43
	v_mul_f32_e32 v120, 0xbe750f2a, v42
	v_fma_f32 v42, v57, s13, -v120
	v_mul_f32_e32 v122, 0x3eedf032, v90
	v_add_f32_e32 v42, v42, v1
	v_fma_f32 v90, v62, s6, -v122
	v_mul_f32_e32 v118, 0xbf29c268, v118
	v_add_f32_e32 v42, v90, v42
	v_mov_b32_e32 v90, v118
	v_fmac_f32_e32 v90, 0xbf3f9e67, v65
	v_mul_f32_e32 v124, 0xbf29c268, v119
	v_add_f32_e32 v43, v90, v43
	v_fma_f32 v90, v66, s12, -v124
	v_mul_f32_e32 v119, 0x3f52af12, v123
	v_add_f32_e32 v42, v90, v42
	v_mov_b32_e32 v90, v119
	v_fmac_f32_e32 v90, 0x3f116cb1, v69
	;; [unrolled: 7-line block ×3, first 2 shown]
	v_mul_f32_e32 v126, 0xbf6f5d39, v126
	v_add_f32_e32 v43, v90, v43
	v_fma_f32 v90, v82, s7, -v126
	v_mul_f32_e32 v123, 0x3f7e222b, v129
	s_load_dwordx2 s[6:7], s[4:5], 0x20
	s_load_dwordx2 s[12:13], s[4:5], 0x8
	v_add_f32_e32 v90, v90, v42
	v_mov_b32_e32 v42, v123
	v_mul_f32_e32 v127, 0x3f7e222b, v128
	v_fmac_f32_e32 v42, 0x3df6dbef, v89
	v_add_f32_e32 v42, v42, v43
	v_fma_f32 v43, v91, s2, -v127
	v_add_f32_e32 v43, v43, v90
	v_mul_lo_u16_e32 v90, 13, v85
	s_waitcnt lgkmcnt(0)
	s_barrier
	s_and_saveexec_b64 s[2:3], s[0:1]
	s_cbranch_execz .LBB0_7
; %bb.6:
	v_mul_f32_e32 v128, 0x3f62ad3f, v56
	v_mul_f32_e32 v130, 0x3f116cb1, v56
	;; [unrolled: 1-line block ×18, first 2 shown]
	v_sub_f32_e32 v56, v56, v116
	v_mul_f32_e32 v139, 0x3f116cb1, v62
	v_mul_f32_e32 v141, 0xbeb58ec6, v62
	;; [unrolled: 1-line block ×12, first 2 shown]
	v_add_f32_e32 v57, v120, v57
	v_add_f32_e32 v56, v56, v0
	v_sub_f32_e32 v61, v61, v117
	v_mul_f32_e32 v149, 0x3df6dbef, v66
	v_mul_f32_e32 v151, 0xbf788fa5, v66
	v_mul_f32_e32 v153, 0xbeb58ec6, v66
	v_mul_f32_e32 v155, 0x3f62ad3f, v66
	v_mul_f32_e32 v157, 0x3f116cb1, v66
	v_mul_f32_e32 v66, 0xbf3f9e67, v66
	v_mul_f32_e32 v158, 0xbeb58ec6, v69
	v_mul_f32_e32 v160, 0xbf3f9e67, v69
	v_mul_f32_e32 v162, 0x3f62ad3f, v69
	v_mul_f32_e32 v164, 0x3df6dbef, v69
	v_mul_f32_e32 v166, 0xbf788fa5, v69
	v_mul_f32_e32 v69, 0x3f116cb1, v69
	v_add_f32_e32 v57, v57, v1
	v_add_f32_e32 v62, v122, v62
	v_add_f32_e32 v56, v61, v56
	v_sub_f32_e32 v61, v65, v118
	v_mul_f32_e32 v159, 0xbeb58ec6, v70
	v_mul_f32_e32 v161, 0xbf3f9e67, v70
	v_mul_f32_e32 v163, 0x3f62ad3f, v70
	v_mul_f32_e32 v165, 0x3df6dbef, v70
	v_mul_f32_e32 v167, 0xbf788fa5, v70
	v_mul_f32_e32 v70, 0x3f116cb1, v70
	v_mul_f32_e32 v168, 0xbf3f9e67, v81
	v_mul_f32_e32 v170, 0x3df6dbef, v81
	v_mul_f32_e32 v172, 0x3f116cb1, v81
	v_mul_f32_e32 v174, 0xbf788fa5, v81
	v_mul_f32_e32 v176, 0x3f62ad3f, v81
	v_mul_f32_e32 v81, 0xbeb58ec6, v81
	v_add_f32_e32 v57, v62, v57
	;; [unrolled: 16-line block ×3, first 2 shown]
	v_add_f32_e32 v62, v125, v70
	v_add_f32_e32 v56, v61, v56
	v_sub_f32_e32 v61, v81, v121
	v_mul_f32_e32 v179, 0xbf788fa5, v91
	v_mul_f32_e32 v181, 0x3f62ad3f, v91
	;; [unrolled: 1-line block ×6, first 2 shown]
	v_add_f32_e32 v57, v62, v57
	v_add_f32_e32 v62, v126, v82
	;; [unrolled: 1-line block ×3, first 2 shown]
	v_sub_f32_e32 v61, v89, v123
	v_add_f32_e32 v57, v62, v57
	v_add_f32_e32 v62, v127, v91
	;; [unrolled: 1-line block ×16, first 2 shown]
	v_sub_f32_e32 v61, v136, v104
	v_add_f32_e32 v61, v61, v0
	v_sub_f32_e32 v65, v146, v105
	v_add_f32_e32 v61, v65, v61
	;; [unrolled: 2-line block ×6, first 2 shown]
	v_add_f32_e32 v65, v96, v135
	v_add_f32_e32 v65, v65, v1
	;; [unrolled: 1-line block ×12, first 2 shown]
	v_sub_f32_e32 v65, v134, v92
	v_add_f32_e32 v65, v65, v0
	v_sub_f32_e32 v69, v144, v93
	v_add_f32_e32 v65, v69, v65
	;; [unrolled: 2-line block ×6, first 2 shown]
	v_add_f32_e32 v69, v75, v133
	v_add_f32_e32 v69, v69, v1
	;; [unrolled: 1-line block ×12, first 2 shown]
	v_sub_f32_e32 v69, v132, v71
	v_add_f32_e32 v31, v31, v131
	v_sub_f32_e32 v30, v130, v30
	v_add_f32_e32 v29, v29, v129
	;; [unrolled: 2-line block ×3, first 2 shown]
	v_add_f32_e32 v31, v31, v1
	v_add_f32_e32 v30, v30, v0
	;; [unrolled: 1-line block ×17, first 2 shown]
	v_sub_f32_e32 v32, v138, v32
	v_add_f32_e32 v1, v15, v1
	v_add_f32_e32 v0, v14, v0
	v_sub_f32_e32 v71, v142, v72
	v_add_f32_e32 v35, v35, v141
	v_sub_f32_e32 v34, v140, v34
	v_add_f32_e32 v29, v33, v29
	v_add_f32_e32 v33, v37, v149
	v_add_f32_e32 v28, v32, v28
	v_sub_f32_e32 v32, v148, v36
	v_add_f32_e32 v1, v17, v1
	v_add_f32_e32 v0, v16, v0
	;; [unrolled: 4-line block ×13, first 2 shown]
	v_add_f32_e32 v1, v27, v1
	v_add_f32_e32 v0, v26, v0
	v_add_lshl_u32 v2, v52, v90, 3
	v_add_f32_e32 v69, v71, v69
	v_add_f32_e32 v31, v35, v31
	;; [unrolled: 1-line block ×3, first 2 shown]
	ds_write2_b64 v2, v[0:1], v[28:29] offset1:1
	ds_write2_b64 v2, v[30:31], v[69:70] offset0:2 offset1:3
	ds_write2_b64 v2, v[65:66], v[61:62] offset0:4 offset1:5
	;; [unrolled: 1-line block ×5, first 2 shown]
	ds_write_b64 v2, v[24:25] offset:96
.LBB0_7:
	s_or_b64 exec, exec, s[2:3]
	v_add_lshl_u32 v88, v52, v85, 3
	v_add_u32_e32 v0, 0x800, v88
	s_waitcnt lgkmcnt(0)
	s_barrier
	ds_read2_b64 v[30:33], v0 offset0:30 offset1:173
	v_add_u32_e32 v0, 0x1000, v88
	ds_read2_b64 v[26:29], v88 offset1:143
	ds_read2_b64 v[34:37], v0 offset0:60 offset1:203
	ds_read_b64 v[48:49], v88 offset:6864
	v_cmp_gt_u16_e64 s[2:3], 52, v85
                                        ; implicit-def: $vgpr50
	s_and_saveexec_b64 s[4:5], s[2:3]
	s_cbranch_execz .LBB0_9
; %bb.8:
	v_add_u32_e32 v0, 0xa00, v88
	ds_read2_b64 v[0:3], v0 offset0:57 offset1:200
	v_add_u32_e32 v4, 0x1400, v88
	ds_read2_b64 v[22:25], v4 offset0:23 offset1:166
	ds_read2_b64 v[4:7], v88 offset0:91 offset1:234
	ds_read_b64 v[50:51], v88 offset:7592
	s_waitcnt lgkmcnt(2)
	v_mov_b32_e32 v38, v22
	v_mov_b32_e32 v40, v2
	v_mov_b32_e32 v41, v3
	v_mov_b32_e32 v39, v23
	v_mov_b32_e32 v44, v0
	v_mov_b32_e32 v45, v1
	s_waitcnt lgkmcnt(1)
	v_mov_b32_e32 v46, v6
	v_mov_b32_e32 v47, v7
	;; [unrolled: 1-line block ×4, first 2 shown]
.LBB0_9:
	s_or_b64 exec, exec, s[4:5]
	s_movk_i32 s4, 0x4f
	v_mul_lo_u16_sdwa v0, v85, s4 dst_sel:DWORD dst_unused:UNUSED_PAD src0_sel:BYTE_0 src1_sel:DWORD
	v_lshrrev_b16_e32 v61, 10, v0
	v_add_u16_e32 v2, 0x5b, v85
	v_mul_lo_u16_e32 v0, 13, v61
	v_mul_lo_u16_sdwa v3, v2, s4 dst_sel:DWORD dst_unused:UNUSED_PAD src0_sel:BYTE_0 src1_sel:DWORD
	v_sub_u16_e32 v62, v85, v0
	v_mov_b32_e32 v0, 6
	v_lshrrev_b16_e32 v91, 10, v3
	v_mul_u32_u24_sdwa v1, v62, v0 dst_sel:DWORD dst_unused:UNUSED_PAD src0_sel:BYTE_0 src1_sel:DWORD
	v_mul_lo_u16_e32 v3, 13, v91
	v_lshlrev_b32_e32 v1, 3, v1
	v_sub_u16_e32 v92, v2, v3
	global_load_dwordx4 v[16:19], v1, s[12:13]
	global_load_dwordx4 v[12:15], v1, s[12:13] offset:16
	global_load_dwordx4 v[20:23], v1, s[12:13] offset:32
	v_mul_u32_u24_sdwa v0, v92, v0 dst_sel:DWORD dst_unused:UNUSED_PAD src0_sel:BYTE_0 src1_sel:DWORD
	v_lshlrev_b32_e32 v53, 3, v0
	global_load_dwordx4 v[0:3], v53, s[12:13]
	global_load_dwordx4 v[8:11], v53, s[12:13] offset:16
	global_load_dwordx4 v[4:7], v53, s[12:13] offset:32
	s_mov_b32 s14, 0x3f5ff5aa
	s_mov_b32 s15, 0x3f3bfb3b
	;; [unrolled: 1-line block ×4, first 2 shown]
	s_load_dwordx4 s[4:7], s[6:7], 0x0
	s_waitcnt vmcnt(0) lgkmcnt(0)
	s_barrier
	v_mul_f32_e32 v53, v29, v17
	v_mul_f32_e32 v54, v28, v17
	;; [unrolled: 1-line block ×13, first 2 shown]
	v_fma_f32 v28, v28, v16, -v53
	v_fmac_f32_e32 v54, v29, v16
	v_fma_f32 v29, v30, v18, -v55
	v_fma_f32 v30, v32, v12, -v57
	v_fmac_f32_e32 v58, v33, v12
	v_fma_f32 v32, v36, v20, -v63
	v_fma_f32 v33, v48, v22, -v65
	v_mul_f32_e32 v60, v34, v15
	v_mul_f32_e32 v67, v47, v1
	;; [unrolled: 1-line block ×5, first 2 shown]
	v_fmac_f32_e32 v56, v31, v18
	v_fma_f32 v31, v34, v14, -v59
	v_fmac_f32_e32 v64, v37, v20
	v_fmac_f32_e32 v66, v49, v22
	v_fma_f32 v36, v40, v8, -v71
	v_fma_f32 v37, v38, v10, -v73
	v_add_f32_e32 v38, v28, v33
	v_add_f32_e32 v40, v29, v32
	v_mul_f32_e32 v68, v46, v1
	v_mul_f32_e32 v70, v44, v3
	;; [unrolled: 1-line block ×4, first 2 shown]
	v_fmac_f32_e32 v60, v35, v14
	v_fma_f32 v34, v46, v0, -v67
	v_fma_f32 v35, v44, v2, -v69
	v_fmac_f32_e32 v72, v41, v8
	v_fmac_f32_e32 v74, v39, v10
	v_add_f32_e32 v39, v54, v66
	v_add_f32_e32 v41, v56, v64
	v_sub_f32_e32 v29, v29, v32
	v_add_f32_e32 v44, v30, v31
	v_sub_f32_e32 v30, v31, v30
	v_add_f32_e32 v46, v40, v38
	v_mul_f32_e32 v75, v25, v5
	v_mul_f32_e32 v78, v50, v7
	v_fmac_f32_e32 v68, v47, v0
	v_fmac_f32_e32 v70, v45, v2
	;; [unrolled: 1-line block ×3, first 2 shown]
	v_fma_f32 v25, v50, v6, -v77
	v_sub_f32_e32 v28, v28, v33
	v_sub_f32_e32 v32, v56, v64
	v_add_f32_e32 v45, v58, v60
	v_sub_f32_e32 v31, v60, v58
	v_add_f32_e32 v47, v41, v39
	v_sub_f32_e32 v48, v40, v38
	v_sub_f32_e32 v50, v38, v44
	;; [unrolled: 1-line block ×3, first 2 shown]
	v_add_f32_e32 v38, v30, v29
	v_add_f32_e32 v44, v44, v46
	v_fmac_f32_e32 v78, v51, v6
	v_sub_f32_e32 v33, v54, v66
	v_sub_f32_e32 v49, v41, v39
	;; [unrolled: 1-line block ×4, first 2 shown]
	v_add_f32_e32 v39, v31, v32
	v_sub_f32_e32 v53, v30, v29
	v_sub_f32_e32 v30, v28, v30
	;; [unrolled: 1-line block ×3, first 2 shown]
	v_add_f32_e32 v45, v45, v47
	v_add_f32_e32 v28, v38, v28
	;; [unrolled: 1-line block ×3, first 2 shown]
	v_sub_f32_e32 v54, v31, v32
	v_sub_f32_e32 v31, v33, v31
	;; [unrolled: 1-line block ×3, first 2 shown]
	v_add_f32_e32 v33, v39, v33
	v_add_f32_e32 v39, v27, v45
	v_mov_b32_e32 v55, v38
	v_mul_f32_e32 v26, 0x3f4a47b2, v50
	v_mul_f32_e32 v27, 0x3f4a47b2, v51
	;; [unrolled: 1-line block ×7, first 2 shown]
	v_fmac_f32_e32 v55, 0xbf955555, v44
	v_mov_b32_e32 v44, v39
	v_mul_f32_e32 v54, 0x3f5ff5aa, v32
	v_fmac_f32_e32 v44, 0xbf955555, v45
	v_fma_f32 v45, v48, s15, -v46
	v_fma_f32 v46, v49, s15, -v47
	;; [unrolled: 1-line block ×3, first 2 shown]
	v_fmac_f32_e32 v26, 0x3d64c772, v40
	v_fma_f32 v40, v49, s16, -v27
	v_fmac_f32_e32 v27, 0x3d64c772, v41
	v_fma_f32 v29, v29, s14, -v50
	;; [unrolled: 2-line block ×4, first 2 shown]
	v_fma_f32 v24, v24, v4, -v75
	v_add_f32_e32 v26, v26, v55
	v_add_f32_e32 v27, v27, v44
	;; [unrolled: 1-line block ×4, first 2 shown]
	v_fmac_f32_e32 v50, 0x3ee1c552, v28
	v_fmac_f32_e32 v51, 0x3ee1c552, v33
	;; [unrolled: 1-line block ×4, first 2 shown]
	v_fma_f32 v31, v31, s17, -v54
	v_add_f32_e32 v48, v45, v55
	v_fmac_f32_e32 v32, 0x3ee1c552, v33
	v_add_f32_e32 v40, v51, v26
	v_sub_f32_e32 v41, v27, v50
	v_sub_f32_e32 v45, v49, v30
	v_add_f32_e32 v54, v29, v46
	v_sub_f32_e32 v56, v46, v29
	v_add_f32_e32 v58, v30, v49
	v_sub_f32_e32 v59, v26, v51
	v_add_f32_e32 v60, v50, v27
	v_add_f32_e32 v26, v34, v25
	v_add_f32_e32 v27, v68, v78
	;; [unrolled: 1-line block ×5, first 2 shown]
	v_fmac_f32_e32 v31, 0x3ee1c552, v33
	v_sub_f32_e32 v53, v48, v32
	v_add_f32_e32 v55, v32, v48
	v_sub_f32_e32 v25, v34, v25
	v_sub_f32_e32 v24, v35, v24
	v_add_f32_e32 v32, v36, v37
	v_add_f32_e32 v33, v72, v74
	v_sub_f32_e32 v34, v37, v36
	v_add_f32_e32 v36, v29, v26
	v_add_f32_e32 v37, v30, v27
	;; [unrolled: 1-line block ×3, first 2 shown]
	v_sub_f32_e32 v57, v47, v31
	v_sub_f32_e32 v31, v70, v76
	;; [unrolled: 1-line block ×9, first 2 shown]
	v_add_f32_e32 v48, v34, v24
	v_add_f32_e32 v32, v32, v36
	;; [unrolled: 1-line block ×3, first 2 shown]
	v_sub_f32_e32 v28, v68, v78
	v_add_f32_e32 v49, v35, v31
	v_sub_f32_e32 v50, v34, v24
	v_sub_f32_e32 v51, v35, v31
	;; [unrolled: 1-line block ×4, first 2 shown]
	v_add_f32_e32 v48, v48, v25
	v_add_f32_e32 v24, v42, v32
	;; [unrolled: 1-line block ×3, first 2 shown]
	v_sub_f32_e32 v35, v28, v35
	v_sub_f32_e32 v31, v31, v28
	v_add_f32_e32 v49, v49, v28
	v_mul_f32_e32 v36, 0x3f4a47b2, v26
	v_mul_f32_e32 v37, 0x3f4a47b2, v27
	;; [unrolled: 1-line block ×5, first 2 shown]
	v_mov_b32_e32 v51, v24
	v_mov_b32_e32 v64, v25
	v_mul_f32_e32 v26, 0xbf08b237, v50
	v_mul_f32_e32 v43, 0x3f5ff5aa, v63
	;; [unrolled: 1-line block ×3, first 2 shown]
	v_fmac_f32_e32 v51, 0xbf955555, v32
	v_fmac_f32_e32 v64, 0xbf955555, v33
	v_fma_f32 v65, v46, s15, -v28
	v_fma_f32 v42, v47, s15, -v42
	v_fma_f32 v46, v46, s16, -v36
	v_fmac_f32_e32 v36, 0x3d64c772, v29
	v_fma_f32 v47, v47, s16, -v37
	v_fmac_f32_e32 v37, 0x3d64c772, v30
	v_fma_f32 v28, v63, s14, -v26
	;; [unrolled: 2-line block ×4, first 2 shown]
	v_fma_f32 v32, v35, s17, -v50
	v_add_f32_e32 v30, v36, v51
	v_add_f32_e32 v36, v42, v64
	v_mul_u32_u24_e32 v42, 0x5b, v61
	v_add_f32_e32 v33, v37, v64
	v_add_f32_e32 v34, v65, v51
	;; [unrolled: 1-line block ×4, first 2 shown]
	v_fmac_f32_e32 v26, 0x3ee1c552, v48
	v_fmac_f32_e32 v27, 0x3ee1c552, v49
	;; [unrolled: 1-line block ×6, first 2 shown]
	v_add_u32_sdwa v42, v42, v62 dst_sel:DWORD dst_unused:UNUSED_PAD src0_sel:DWORD src1_sel:BYTE_0
	v_add_f32_e32 v48, v29, v34
	v_sub_f32_e32 v49, v36, v28
	v_sub_f32_e32 v50, v35, v32
	v_add_f32_e32 v51, v31, v37
	v_sub_f32_e32 v46, v30, v27
	v_add_f32_e32 v47, v26, v33
	v_add_lshl_u32 v93, v52, v42, 3
	ds_write2_b64 v93, v[38:39], v[40:41] offset1:13
	ds_write2_b64 v93, v[44:45], v[53:54] offset0:26 offset1:39
	ds_write2_b64 v93, v[55:56], v[57:58] offset0:52 offset1:65
	ds_write_b64 v93, v[59:60] offset:624
	s_and_saveexec_b64 s[14:15], s[2:3]
	s_cbranch_execz .LBB0_11
; %bb.10:
	v_sub_f32_e32 v38, v34, v29
	v_sub_f32_e32 v29, v37, v31
	;; [unrolled: 1-line block ×3, first 2 shown]
	v_mul_u32_u24_e32 v26, 0x5b, v91
	v_add_u32_sdwa v26, v26, v92 dst_sel:DWORD dst_unused:UNUSED_PAD src0_sel:DWORD src1_sel:BYTE_0
	v_add_f32_e32 v30, v27, v30
	v_add_lshl_u32 v26, v52, v26, 3
	v_add_f32_e32 v39, v28, v36
	v_add_f32_e32 v28, v32, v35
	ds_write2_b64 v26, v[24:25], v[30:31] offset1:13
	ds_write2_b64 v26, v[28:29], v[38:39] offset0:26 offset1:39
	ds_write2_b64 v26, v[48:49], v[50:51] offset0:52 offset1:65
	ds_write_b64 v26, v[46:47] offset:624
.LBB0_11:
	s_or_b64 exec, exec, s[14:15]
	v_mov_b32_e32 v25, s13
	s_movk_i32 s14, 0x50
	v_mov_b32_e32 v24, s12
	v_mad_u64_u32 v[44:45], s[12:13], v85, s14, v[24:25]
	s_waitcnt lgkmcnt(0)
	s_barrier
	global_load_dwordx4 v[36:39], v[44:45], off offset:624
	global_load_dwordx4 v[32:35], v[44:45], off offset:640
	global_load_dwordx4 v[28:31], v[44:45], off offset:656
	global_load_dwordx4 v[24:27], v[44:45], off offset:672
	global_load_dwordx4 v[40:43], v[44:45], off offset:688
	ds_read_b64 v[44:45], v88
	ds_read2_b64 v[52:55], v88 offset0:91 offset1:182
	v_add_u32_e32 v56, 0x800, v88
	v_add_u32_e32 v60, 0xc00, v88
	;; [unrolled: 1-line block ×4, first 2 shown]
	ds_read2_b64 v[56:59], v56 offset0:17 offset1:108
	ds_read2_b64 v[60:63], v60 offset0:71 offset1:162
	;; [unrolled: 1-line block ×4, first 2 shown]
	s_mov_b32 s12, 0x3f575c64
	s_mov_b32 s13, 0x3ed4b147
	;; [unrolled: 1-line block ×5, first 2 shown]
	s_waitcnt vmcnt(4) lgkmcnt(4)
	v_mul_f32_e32 v72, v53, v37
	v_mul_f32_e32 v73, v52, v37
	;; [unrolled: 1-line block ×3, first 2 shown]
	s_waitcnt vmcnt(3) lgkmcnt(3)
	v_mul_f32_e32 v77, v56, v33
	s_waitcnt vmcnt(2) lgkmcnt(2)
	v_mul_f32_e32 v82, v63, v31
	v_fma_f32 v52, v52, v36, -v72
	v_mul_f32_e32 v75, v54, v39
	v_mul_f32_e32 v76, v57, v33
	;; [unrolled: 1-line block ×3, first 2 shown]
	v_fmac_f32_e32 v73, v53, v36
	v_fma_f32 v53, v54, v38, -v74
	v_fmac_f32_e32 v77, v57, v32
	v_fma_f32 v57, v62, v30, -v82
	v_add_f32_e32 v62, v44, v52
	v_mul_f32_e32 v78, v59, v35
	v_fmac_f32_e32 v75, v55, v38
	v_fma_f32 v54, v56, v32, -v76
	v_fmac_f32_e32 v84, v63, v30
	v_add_f32_e32 v63, v45, v73
	v_add_f32_e32 v62, v62, v53
	v_mul_f32_e32 v79, v58, v35
	v_mul_f32_e32 v81, v61, v29
	v_fma_f32 v55, v58, v34, -v78
	v_add_f32_e32 v63, v63, v75
	v_add_f32_e32 v62, v62, v54
	v_mul_f32_e32 v83, v60, v29
	v_fmac_f32_e32 v79, v59, v34
	v_fma_f32 v56, v60, v28, -v81
	v_add_f32_e32 v63, v63, v77
	v_add_f32_e32 v62, v62, v55
	s_waitcnt vmcnt(1) lgkmcnt(1)
	v_mul_f32_e32 v89, v65, v25
	s_waitcnt vmcnt(0) lgkmcnt(0)
	v_mul_f32_e32 v99, v71, v43
	v_fmac_f32_e32 v83, v61, v28
	v_add_f32_e32 v63, v63, v79
	v_add_f32_e32 v62, v62, v56
	v_mul_f32_e32 v94, v64, v25
	v_mul_f32_e32 v95, v67, v27
	;; [unrolled: 1-line block ×3, first 2 shown]
	v_fma_f32 v58, v64, v24, -v89
	v_fma_f32 v61, v70, v42, -v99
	v_add_f32_e32 v63, v63, v83
	v_add_f32_e32 v62, v62, v57
	v_mul_f32_e32 v96, v66, v27
	v_mul_f32_e32 v97, v69, v41
	v_fmac_f32_e32 v94, v65, v24
	v_fma_f32 v59, v66, v26, -v95
	v_fmac_f32_e32 v100, v71, v42
	v_add_f32_e32 v64, v52, v61
	v_sub_f32_e32 v52, v52, v61
	v_add_f32_e32 v63, v63, v84
	v_add_f32_e32 v62, v62, v58
	v_mul_f32_e32 v98, v68, v41
	v_fmac_f32_e32 v96, v67, v26
	v_fma_f32 v60, v68, v40, -v97
	v_add_f32_e32 v65, v73, v100
	v_mul_f32_e32 v68, 0xbf0a6770, v52
	v_add_f32_e32 v63, v63, v94
	v_add_f32_e32 v62, v62, v59
	v_fmac_f32_e32 v98, v69, v40
	v_mov_b32_e32 v70, v68
	v_fma_f32 v68, v65, s12, -v68
	v_add_f32_e32 v63, v63, v96
	v_add_f32_e32 v62, v62, v60
	;; [unrolled: 1-line block ×5, first 2 shown]
	v_mul_f32_e32 v68, 0xbf68dda4, v52
	v_mul_f32_e32 v74, 0xbf7d64f0, v52
	;; [unrolled: 1-line block ×4, first 2 shown]
	v_sub_f32_e32 v66, v73, v100
	v_add_f32_e32 v82, v63, v100
	v_mov_b32_e32 v71, v68
	v_mov_b32_e32 v76, v74
	;; [unrolled: 1-line block ×4, first 2 shown]
	v_fmac_f32_e32 v70, 0x3f575c64, v65
	v_fmac_f32_e32 v71, 0x3ed4b147, v65
	v_fma_f32 v68, v65, s13, -v68
	v_fmac_f32_e32 v76, 0xbe11bafb, v65
	v_fma_f32 v74, v65, s14, -v74
	;; [unrolled: 2-line block ×4, first 2 shown]
	v_mul_f32_e32 v67, 0xbf0a6770, v66
	v_add_f32_e32 v70, v45, v70
	v_mul_f32_e32 v62, 0xbf68dda4, v66
	v_add_f32_e32 v71, v45, v71
	v_add_f32_e32 v68, v45, v68
	v_mul_f32_e32 v72, 0xbf7d64f0, v66
	v_add_f32_e32 v76, v45, v76
	;; [unrolled: 3-line block ×4, first 2 shown]
	v_add_f32_e32 v45, v45, v52
	v_add_f32_e32 v52, v53, v60
	v_sub_f32_e32 v53, v53, v60
	v_sub_f32_e32 v60, v75, v98
	v_fma_f32 v69, v64, s12, -v67
	v_fmac_f32_e32 v67, 0x3f575c64, v64
	v_fma_f32 v63, v64, s13, -v62
	v_fmac_f32_e32 v62, 0x3ed4b147, v64
	v_fma_f32 v73, v64, s14, -v72
	v_fmac_f32_e32 v72, 0xbe11bafb, v64
	v_fma_f32 v89, v64, s15, -v78
	v_fmac_f32_e32 v78, 0xbf27a4f4, v64
	v_fma_f32 v99, v64, s16, -v66
	v_fmac_f32_e32 v66, 0xbf75a155, v64
	v_mul_f32_e32 v65, 0xbf68dda4, v60
	v_add_f32_e32 v69, v44, v69
	v_add_f32_e32 v67, v44, v67
	;; [unrolled: 1-line block ×10, first 2 shown]
	v_fma_f32 v66, v52, s13, -v65
	v_add_f32_e32 v64, v75, v98
	v_add_f32_e32 v66, v66, v69
	v_mul_f32_e32 v69, 0xbf68dda4, v53
	v_fmac_f32_e32 v65, 0x3ed4b147, v52
	v_add_f32_e32 v65, v65, v67
	v_fma_f32 v67, v64, s13, -v69
	v_add_f32_e32 v61, v67, v61
	v_mul_f32_e32 v67, 0xbf4178ce, v60
	v_mov_b32_e32 v75, v69
	v_fma_f32 v69, v52, s15, -v67
	v_add_f32_e32 v63, v69, v63
	v_mul_f32_e32 v69, 0xbf4178ce, v53
	v_fmac_f32_e32 v67, 0xbf27a4f4, v52
	v_add_f32_e32 v62, v67, v62
	v_fma_f32 v67, v64, s15, -v69
	v_fmac_f32_e32 v75, 0x3ed4b147, v64
	v_add_f32_e32 v67, v67, v68
	v_mul_f32_e32 v68, 0x3e903f40, v60
	v_add_f32_e32 v70, v75, v70
	v_mov_b32_e32 v75, v69
	v_fma_f32 v69, v52, s16, -v68
	v_fmac_f32_e32 v75, 0xbf27a4f4, v64
	v_add_f32_e32 v69, v69, v73
	v_mul_f32_e32 v73, 0x3e903f40, v53
	v_add_f32_e32 v71, v75, v71
	v_mov_b32_e32 v75, v73
	v_fmac_f32_e32 v68, 0xbf75a155, v52
	v_fmac_f32_e32 v75, 0xbf75a155, v64
	v_add_f32_e32 v68, v68, v72
	v_fma_f32 v72, v64, s16, -v73
	v_mul_f32_e32 v73, 0x3f7d64f0, v60
	v_add_f32_e32 v75, v75, v76
	v_add_f32_e32 v72, v72, v74
	v_fma_f32 v74, v52, s14, -v73
	v_mul_f32_e32 v76, 0x3f7d64f0, v53
	v_fmac_f32_e32 v73, 0xbe11bafb, v52
	v_mul_f32_e32 v60, 0x3f0a6770, v60
	v_mul_f32_e32 v53, 0x3f0a6770, v53
	v_add_f32_e32 v73, v73, v78
	v_fma_f32 v78, v52, s12, -v60
	v_fmac_f32_e32 v60, 0x3f575c64, v52
	v_fma_f32 v52, v64, s12, -v53
	v_add_f32_e32 v74, v74, v89
	v_mov_b32_e32 v89, v76
	v_fma_f32 v76, v64, s14, -v76
	v_add_f32_e32 v45, v52, v45
	v_add_f32_e32 v52, v54, v59
	v_sub_f32_e32 v54, v54, v59
	v_sub_f32_e32 v59, v77, v96
	v_add_f32_e32 v76, v76, v95
	v_mov_b32_e32 v95, v53
	v_add_f32_e32 v44, v60, v44
	v_mul_f32_e32 v60, 0xbf7d64f0, v59
	v_fmac_f32_e32 v89, 0xbe11bafb, v64
	v_fmac_f32_e32 v95, 0x3f575c64, v64
	v_fma_f32 v64, v52, s14, -v60
	v_add_f32_e32 v53, v77, v96
	v_add_f32_e32 v64, v64, v66
	v_mul_f32_e32 v66, 0xbf7d64f0, v54
	v_fmac_f32_e32 v60, 0xbe11bafb, v52
	v_add_f32_e32 v60, v60, v65
	v_fma_f32 v65, v53, s14, -v66
	v_add_f32_e32 v61, v65, v61
	v_mul_f32_e32 v65, 0x3e903f40, v59
	v_mov_b32_e32 v77, v66
	v_fma_f32 v66, v52, s16, -v65
	v_fmac_f32_e32 v77, 0xbe11bafb, v53
	v_add_f32_e32 v63, v66, v63
	v_mul_f32_e32 v66, 0x3e903f40, v54
	v_fmac_f32_e32 v65, 0xbf75a155, v52
	v_add_f32_e32 v70, v77, v70
	v_mov_b32_e32 v77, v66
	v_add_f32_e32 v62, v65, v62
	v_fma_f32 v65, v53, s16, -v66
	v_mul_f32_e32 v66, 0x3f68dda4, v59
	v_add_f32_e32 v65, v65, v67
	v_fma_f32 v67, v52, s13, -v66
	v_fmac_f32_e32 v77, 0xbf75a155, v53
	v_add_f32_e32 v67, v67, v69
	v_mul_f32_e32 v69, 0x3f68dda4, v54
	v_fmac_f32_e32 v66, 0x3ed4b147, v52
	v_add_f32_e32 v71, v77, v71
	v_mov_b32_e32 v77, v69
	v_add_f32_e32 v66, v66, v68
	v_fma_f32 v68, v53, s13, -v69
	v_mul_f32_e32 v69, 0xbf0a6770, v59
	v_add_f32_e32 v68, v68, v72
	v_fma_f32 v72, v52, s12, -v69
	v_fmac_f32_e32 v77, 0x3ed4b147, v53
	v_add_f32_e32 v72, v72, v74
	v_mul_f32_e32 v74, 0xbf0a6770, v54
	v_fmac_f32_e32 v69, 0x3f575c64, v52
	v_mul_f32_e32 v59, 0xbf4178ce, v59
	v_mul_f32_e32 v54, 0xbf4178ce, v54
	v_add_f32_e32 v75, v77, v75
	v_mov_b32_e32 v77, v74
	v_add_f32_e32 v69, v69, v73
	v_fma_f32 v73, v53, s12, -v74
	v_fma_f32 v74, v52, s15, -v59
	v_fmac_f32_e32 v59, 0xbf27a4f4, v52
	v_fma_f32 v52, v53, s15, -v54
	v_add_f32_e32 v73, v73, v76
	v_mov_b32_e32 v76, v54
	v_add_f32_e32 v45, v52, v45
	v_add_f32_e32 v52, v55, v58
	v_sub_f32_e32 v54, v55, v58
	v_sub_f32_e32 v55, v79, v94
	v_mul_f32_e32 v58, 0xbf4178ce, v55
	v_add_f32_e32 v44, v59, v44
	v_fma_f32 v59, v52, s15, -v58
	v_fmac_f32_e32 v77, 0x3f575c64, v53
	v_fmac_f32_e32 v76, 0xbf27a4f4, v53
	v_add_f32_e32 v53, v79, v94
	v_add_f32_e32 v59, v59, v64
	v_mul_f32_e32 v64, 0xbf4178ce, v54
	v_fmac_f32_e32 v58, 0xbf27a4f4, v52
	v_add_f32_e32 v58, v58, v60
	v_fma_f32 v60, v53, s15, -v64
	v_add_f32_e32 v78, v78, v99
	v_add_f32_e32 v60, v60, v61
	v_mul_f32_e32 v61, 0x3f7d64f0, v55
	v_add_f32_e32 v74, v74, v78
	v_mov_b32_e32 v78, v64
	v_fma_f32 v64, v52, s14, -v61
	v_add_f32_e32 v64, v64, v63
	v_mul_f32_e32 v63, 0x3f7d64f0, v54
	v_fmac_f32_e32 v61, 0xbe11bafb, v52
	v_add_f32_e32 v61, v61, v62
	v_fma_f32 v62, v53, s14, -v63
	v_fmac_f32_e32 v78, 0xbf27a4f4, v53
	v_add_f32_e32 v65, v62, v65
	v_mul_f32_e32 v62, 0xbf0a6770, v55
	v_add_f32_e32 v70, v78, v70
	v_mov_b32_e32 v78, v63
	v_fma_f32 v63, v52, s12, -v62
	v_add_f32_e32 v67, v63, v67
	v_mul_f32_e32 v63, 0xbf0a6770, v54
	v_fmac_f32_e32 v62, 0x3f575c64, v52
	v_add_f32_e32 v66, v62, v66
	v_fma_f32 v62, v53, s12, -v63
	v_fmac_f32_e32 v78, 0xbe11bafb, v53
	v_add_f32_e32 v68, v62, v68
	v_mul_f32_e32 v62, 0xbe903f40, v55
	v_add_f32_e32 v71, v78, v71
	v_mov_b32_e32 v78, v63
	v_fma_f32 v63, v52, s16, -v62
	v_fmac_f32_e32 v78, 0x3f575c64, v53
	v_add_f32_e32 v72, v63, v72
	v_mul_f32_e32 v63, 0xbe903f40, v54
	v_fmac_f32_e32 v62, 0xbf75a155, v52
	v_add_f32_e32 v89, v89, v97
	v_add_f32_e32 v75, v78, v75
	v_mov_b32_e32 v78, v63
	v_add_f32_e32 v69, v62, v69
	v_fma_f32 v62, v53, s16, -v63
	v_mul_f32_e32 v55, 0x3f68dda4, v55
	v_add_f32_e32 v77, v77, v89
	v_fmac_f32_e32 v78, 0xbf75a155, v53
	v_add_f32_e32 v73, v62, v73
	v_fma_f32 v62, v52, s13, -v55
	v_mul_f32_e32 v54, 0x3f68dda4, v54
	v_add_f32_e32 v79, v83, v84
	v_sub_f32_e32 v83, v83, v84
	v_add_f32_e32 v95, v95, v100
	v_add_f32_e32 v77, v78, v77
	;; [unrolled: 1-line block ×3, first 2 shown]
	v_mov_b32_e32 v62, v54
	v_fmac_f32_e32 v55, 0x3ed4b147, v52
	v_fma_f32 v52, v53, s13, -v54
	v_add_f32_e32 v78, v56, v57
	v_sub_f32_e32 v89, v56, v57
	v_mul_f32_e32 v54, 0xbe903f40, v83
	v_add_f32_e32 v76, v76, v95
	v_fmac_f32_e32 v62, 0x3ed4b147, v53
	v_add_f32_e32 v44, v55, v44
	v_add_f32_e32 v45, v52, v45
	v_fma_f32 v52, v78, s16, -v54
	v_mul_f32_e32 v55, 0xbe903f40, v89
	v_fmac_f32_e32 v54, 0xbf75a155, v78
	v_add_f32_e32 v76, v62, v76
	v_add_f32_e32 v62, v54, v58
	v_fma_f32 v54, v79, s16, -v55
	v_mul_f32_e32 v56, 0x3f0a6770, v83
	v_add_f32_e32 v63, v54, v60
	v_fma_f32 v54, v78, s12, -v56
	v_mul_f32_e32 v57, 0x3f0a6770, v89
	v_fmac_f32_e32 v56, 0x3f575c64, v78
	v_add_f32_e32 v60, v56, v61
	v_fma_f32 v56, v79, s12, -v57
	v_mul_f32_e32 v58, 0xbf4178ce, v83
	v_add_f32_e32 v52, v52, v59
	v_mov_b32_e32 v53, v55
	v_mov_b32_e32 v55, v57
	v_add_f32_e32 v61, v56, v65
	v_fma_f32 v56, v78, s15, -v58
	v_mul_f32_e32 v59, 0xbf4178ce, v89
	v_fmac_f32_e32 v58, 0xbf27a4f4, v78
	v_fmac_f32_e32 v53, 0xbf75a155, v79
	v_add_f32_e32 v54, v54, v64
	v_fmac_f32_e32 v55, 0x3f575c64, v79
	v_add_f32_e32 v66, v58, v66
	v_fma_f32 v58, v79, s15, -v59
	v_mul_f32_e32 v64, 0x3f68dda4, v83
	v_add_f32_e32 v53, v53, v70
	v_add_f32_e32 v55, v55, v71
	;; [unrolled: 1-line block ×4, first 2 shown]
	v_fma_f32 v58, v78, s13, -v64
	v_fmac_f32_e32 v64, 0x3ed4b147, v78
	v_mul_f32_e32 v70, 0xbf7d64f0, v83
	v_mul_f32_e32 v71, 0xbf7d64f0, v89
	;; [unrolled: 1-line block ×3, first 2 shown]
	v_add_f32_e32 v64, v64, v69
	v_fma_f32 v68, v78, s14, -v70
	v_mov_b32_e32 v69, v71
	v_fmac_f32_e32 v70, 0xbe11bafb, v78
	v_mov_b32_e32 v57, v59
	v_mov_b32_e32 v59, v65
	v_fmac_f32_e32 v69, 0xbe11bafb, v79
	v_add_f32_e32 v70, v70, v44
	v_fma_f32 v44, v79, s14, -v71
	v_lshl_add_u32 v89, v85, 3, v87
	v_fmac_f32_e32 v57, 0xbf27a4f4, v79
	v_fmac_f32_e32 v59, 0x3ed4b147, v79
	v_fma_f32 v65, v79, s13, -v65
	v_add_f32_e32 v68, v68, v74
	v_add_f32_e32 v69, v69, v76
	v_add_f32_e32 v71, v44, v45
	v_add_u32_e32 v45, 0xc00, v89
	v_add_f32_e32 v57, v57, v75
	v_add_f32_e32 v58, v58, v72
	;; [unrolled: 1-line block ×4, first 2 shown]
	ds_write_b64 v89, v[81:82]
	ds_write2_b64 v89, v[52:53], v[54:55] offset0:91 offset1:182
	v_add_u32_e32 v44, 0x800, v89
	ds_write2_b64 v45, v[68:69], v[70:71] offset0:71 offset1:162
	v_add_u32_e32 v72, 0x1000, v89
	v_add_u32_e32 v45, 0x1800, v89
	ds_write2_b64 v44, v[56:57], v[58:59] offset0:17 offset1:108
	ds_write2_b64 v72, v[64:65], v[66:67] offset0:125 offset1:216
	;; [unrolled: 1-line block ×3, first 2 shown]
	s_waitcnt lgkmcnt(0)
	s_barrier
	s_and_saveexec_b64 s[12:13], s[0:1]
	s_cbranch_execz .LBB0_13
; %bb.12:
	v_mov_b32_e32 v73, s11
	v_add_co_u32_e32 v79, vcc, s10, v86
	v_addc_co_u32_e32 v94, vcc, 0, v73, vcc
	v_add_co_u32_e32 v73, vcc, 0x1f48, v79
	v_addc_co_u32_e32 v74, vcc, 0, v94, vcc
	;; [unrolled: 2-line block ×3, first 2 shown]
	global_load_dwordx2 v[77:78], v[75:76], off offset:3912
	global_load_dwordx2 v[83:84], v[73:74], off offset:616
	;; [unrolled: 1-line block ×6, first 2 shown]
	s_movk_i32 s14, 0x3000
	v_add_co_u32_e32 v75, vcc, s14, v79
	v_addc_co_u32_e32 v76, vcc, 0, v94, vcc
	global_load_dwordx2 v[122:123], v[75:76], off offset:32
	global_load_dwordx2 v[124:125], v[73:74], off offset:3696
	;; [unrolled: 1-line block ×7, first 2 shown]
	ds_read_b64 v[73:74], v89
	v_add_u32_e32 v79, 0x400, v89
	v_add_u32_e32 v136, 0x1400, v89
	s_waitcnt vmcnt(12) lgkmcnt(0)
	v_mul_f32_e32 v75, v74, v78
	v_mul_f32_e32 v76, v73, v78
	v_fma_f32 v75, v73, v77, -v75
	v_fmac_f32_e32 v76, v74, v77
	ds_write_b64 v89, v[75:76]
	ds_read2_b64 v[73:76], v89 offset0:77 offset1:154
	ds_read2_b64 v[94:97], v79 offset0:103 offset1:180
	;; [unrolled: 1-line block ×6, first 2 shown]
	s_waitcnt vmcnt(11) lgkmcnt(5)
	v_mul_f32_e32 v77, v74, v84
	v_mul_f32_e32 v78, v73, v84
	s_waitcnt vmcnt(10)
	v_mul_f32_e32 v137, v76, v115
	v_mul_f32_e32 v84, v75, v115
	s_waitcnt vmcnt(9) lgkmcnt(4)
	v_mul_f32_e32 v138, v95, v117
	v_mul_f32_e32 v115, v94, v117
	s_waitcnt vmcnt(8)
	v_mul_f32_e32 v139, v97, v119
	v_mul_f32_e32 v117, v96, v119
	;; [unrolled: 6-line block ×3, first 2 shown]
	s_waitcnt lgkmcnt(2)
	v_mul_f32_e32 v142, v103, v123
	v_mul_f32_e32 v125, v102, v123
	s_waitcnt vmcnt(4)
	v_mul_f32_e32 v143, v105, v127
	v_mul_f32_e32 v123, v104, v127
	s_waitcnt vmcnt(3) lgkmcnt(1)
	v_mul_f32_e32 v144, v107, v129
	v_mul_f32_e32 v127, v106, v129
	s_waitcnt vmcnt(2)
	v_mul_f32_e32 v145, v109, v131
	v_mul_f32_e32 v129, v108, v131
	v_fma_f32 v77, v73, v83, -v77
	v_fmac_f32_e32 v78, v74, v83
	v_fma_f32 v83, v75, v114, -v137
	v_fmac_f32_e32 v84, v76, v114
	s_waitcnt vmcnt(1) lgkmcnt(0)
	v_mul_f32_e32 v146, v111, v133
	v_mul_f32_e32 v131, v110, v133
	v_fma_f32 v114, v94, v116, -v138
	v_fmac_f32_e32 v115, v95, v116
	v_fma_f32 v116, v96, v118, -v139
	v_fmac_f32_e32 v117, v97, v118
	;; [unrolled: 2-line block ×8, first 2 shown]
	ds_write2_b64 v89, v[77:78], v[83:84] offset0:77 offset1:154
	ds_write2_b64 v79, v[114:115], v[116:117] offset0:103 offset1:180
	;; [unrolled: 1-line block ×5, first 2 shown]
	s_waitcnt vmcnt(0)
	v_mul_f32_e32 v44, v113, v135
	v_mul_f32_e32 v73, v112, v135
	v_fma_f32 v130, v110, v132, -v146
	v_fmac_f32_e32 v131, v111, v132
	v_fma_f32 v72, v112, v134, -v44
	v_fmac_f32_e32 v73, v113, v134
	ds_write2_b64 v45, v[130:131], v[72:73] offset0:79 offset1:156
.LBB0_13:
	s_or_b64 exec, exec, s[12:13]
	s_waitcnt lgkmcnt(0)
	s_barrier
	s_and_saveexec_b64 s[12:13], s[0:1]
	s_cbranch_execz .LBB0_15
; %bb.14:
	v_add_u32_e32 v44, 0x400, v89
	ds_read_b64 v[81:82], v89
	ds_read2_b64 v[52:55], v89 offset0:77 offset1:154
	ds_read2_b64 v[56:59], v44 offset0:103 offset1:180
	v_add_u32_e32 v44, 0x800, v89
	ds_read2_b64 v[68:71], v44 offset0:129 offset1:206
	v_add_u32_e32 v44, 0x1000, v89
	;; [unrolled: 2-line block ×4, first 2 shown]
	ds_read2_b64 v[48:51], v44 offset0:79 offset1:156
.LBB0_15:
	s_or_b64 exec, exec, s[12:13]
	s_waitcnt lgkmcnt(0)
	v_sub_f32_e32 v45, v53, v51
	v_add_f32_e32 v128, v50, v52
	v_add_f32_e32 v44, v51, v53
	s_mov_b32 s14, 0x3f62ad3f
	v_mul_f32_e32 v94, 0xbeedf032, v45
	v_sub_f32_e32 v106, v55, v49
	v_mul_f32_e32 v95, 0x3f62ad3f, v44
	v_fma_f32 v72, v128, s14, -v94
	s_mov_b32 s13, 0x3f116cb1
	v_add_f32_e32 v140, v48, v54
	v_add_f32_e32 v104, v49, v55
	v_mul_f32_e32 v98, 0xbf52af12, v106
	v_sub_f32_e32 v129, v52, v50
	v_add_f32_e32 v72, v81, v72
	v_mov_b32_e32 v73, v95
	v_mul_f32_e32 v99, 0x3f116cb1, v104
	v_fma_f32 v102, v140, s13, -v98
	v_fmac_f32_e32 v73, 0xbeedf032, v129
	v_sub_f32_e32 v143, v54, v48
	v_add_f32_e32 v72, v102, v72
	v_mov_b32_e32 v102, v99
	v_add_f32_e32 v73, v82, v73
	v_mul_f32_e32 v96, 0xbf52af12, v45
	v_fmac_f32_e32 v102, 0xbf52af12, v143
	v_mul_f32_e32 v97, 0x3f116cb1, v44
	v_fma_f32 v74, v128, s13, -v96
	s_mov_b32 s15, 0xbeb58ec6
	v_add_f32_e32 v73, v102, v73
	v_mul_f32_e32 v102, 0xbf6f5d39, v106
	v_add_f32_e32 v74, v81, v74
	v_mov_b32_e32 v75, v97
	v_mul_f32_e32 v103, 0xbeb58ec6, v104
	v_fma_f32 v108, v140, s15, -v102
	v_fmac_f32_e32 v75, 0xbf52af12, v129
	v_add_f32_e32 v74, v108, v74
	v_mov_b32_e32 v108, v103
	v_add_f32_e32 v75, v82, v75
	s_mov_b32 s12, 0x3df6dbef
	v_mul_f32_e32 v100, 0xbf7e222b, v45
	v_fmac_f32_e32 v108, 0xbf6f5d39, v143
	v_mul_f32_e32 v101, 0x3df6dbef, v44
	v_fma_f32 v76, v128, s12, -v100
	s_mov_b32 s17, 0xbf788fa5
	v_add_f32_e32 v75, v108, v75
	v_mul_f32_e32 v108, 0xbe750f2a, v106
	v_add_f32_e32 v76, v81, v76
	v_mov_b32_e32 v77, v101
	v_mul_f32_e32 v109, 0xbf788fa5, v104
	v_fma_f32 v110, v140, s17, -v108
	v_fmac_f32_e32 v77, 0xbf7e222b, v129
	v_mul_f32_e32 v105, 0xbf6f5d39, v45
	v_add_f32_e32 v76, v110, v76
	v_mov_b32_e32 v110, v109
	v_add_f32_e32 v77, v82, v77
	v_mul_f32_e32 v107, 0xbeb58ec6, v44
	v_fma_f32 v78, v128, s15, -v105
	s_mov_b32 s16, 0xbf3f9e67
	v_fmac_f32_e32 v110, 0xbe750f2a, v143
	v_mul_f32_e32 v115, 0x3f29c268, v106
	v_add_f32_e32 v78, v81, v78
	v_mov_b32_e32 v79, v107
	v_mul_f32_e32 v119, 0xbe750f2a, v45
	v_add_f32_e32 v77, v110, v77
	v_mul_f32_e32 v117, 0xbf3f9e67, v104
	v_fma_f32 v110, v140, s16, -v115
	v_fmac_f32_e32 v79, 0xbf6f5d39, v129
	v_mul_f32_e32 v111, 0xbf29c268, v45
	v_mul_f32_e32 v114, 0xbf3f9e67, v44
	;; [unrolled: 1-line block ×3, first 2 shown]
	v_fma_f32 v44, v128, s17, -v119
	v_add_f32_e32 v78, v110, v78
	v_mov_b32_e32 v110, v117
	v_mul_f32_e32 v133, 0x3eedf032, v106
	v_add_f32_e32 v79, v82, v79
	v_fma_f32 v83, v128, s16, -v111
	v_add_f32_e32 v44, v81, v44
	v_mov_b32_e32 v45, v122
	v_fmac_f32_e32 v110, 0x3f29c268, v143
	v_mul_f32_e32 v123, 0x3f7e222b, v106
	v_mul_f32_e32 v126, 0x3df6dbef, v104
	;; [unrolled: 1-line block ×3, first 2 shown]
	v_fma_f32 v104, v140, s14, -v133
	v_add_f32_e32 v83, v81, v83
	v_mov_b32_e32 v84, v114
	v_fmac_f32_e32 v45, 0xbe750f2a, v129
	v_add_f32_e32 v79, v110, v79
	v_fma_f32 v110, v140, s12, -v123
	v_add_f32_e32 v44, v104, v44
	v_mov_b32_e32 v104, v136
	v_fmac_f32_e32 v84, 0xbf29c268, v129
	v_add_f32_e32 v45, v82, v45
	v_add_f32_e32 v83, v110, v83
	v_mov_b32_e32 v110, v126
	v_fmac_f32_e32 v104, 0x3eedf032, v143
	v_sub_f32_e32 v116, v57, v63
	v_add_f32_e32 v84, v82, v84
	v_fmac_f32_e32 v110, 0x3f7e222b, v143
	v_add_f32_e32 v45, v104, v45
	v_add_f32_e32 v152, v62, v56
	;; [unrolled: 1-line block ×3, first 2 shown]
	v_mul_f32_e32 v104, 0xbf7e222b, v116
	v_add_f32_e32 v84, v110, v84
	v_mul_f32_e32 v106, 0x3df6dbef, v113
	v_fma_f32 v110, v152, s12, -v104
	v_sub_f32_e32 v153, v56, v62
	v_add_f32_e32 v72, v110, v72
	v_mov_b32_e32 v110, v106
	v_fmac_f32_e32 v110, 0xbf7e222b, v153
	v_add_f32_e32 v73, v110, v73
	v_mul_f32_e32 v110, 0xbe750f2a, v116
	v_mul_f32_e32 v112, 0xbf788fa5, v113
	v_fma_f32 v118, v152, s17, -v110
	v_add_f32_e32 v74, v118, v74
	v_mov_b32_e32 v118, v112
	v_fmac_f32_e32 v118, 0xbe750f2a, v153
	v_add_f32_e32 v75, v118, v75
	v_mul_f32_e32 v118, 0x3f6f5d39, v116
	v_mul_f32_e32 v120, 0xbeb58ec6, v113
	v_fma_f32 v121, v152, s15, -v118
	v_add_f32_e32 v76, v121, v76
	v_mov_b32_e32 v121, v120
	v_fmac_f32_e32 v121, 0x3f6f5d39, v153
	v_mul_f32_e32 v127, 0x3eedf032, v116
	v_add_f32_e32 v77, v121, v77
	v_mul_f32_e32 v131, 0x3f62ad3f, v113
	v_fma_f32 v121, v152, s14, -v127
	v_add_f32_e32 v78, v121, v78
	v_mov_b32_e32 v121, v131
	v_mul_f32_e32 v147, 0xbf29c268, v116
	v_fmac_f32_e32 v121, 0x3eedf032, v153
	v_mul_f32_e32 v137, 0xbf52af12, v116
	v_mul_f32_e32 v141, 0x3f116cb1, v113
	;; [unrolled: 1-line block ×3, first 2 shown]
	v_fma_f32 v113, v152, s16, -v147
	v_add_f32_e32 v79, v121, v79
	v_fma_f32 v121, v152, s13, -v137
	v_add_f32_e32 v44, v113, v44
	v_mov_b32_e32 v113, v150
	v_add_f32_e32 v83, v121, v83
	v_mov_b32_e32 v121, v141
	v_fmac_f32_e32 v113, 0xbf29c268, v153
	v_sub_f32_e32 v130, v59, v61
	v_fmac_f32_e32 v121, 0xbf52af12, v153
	v_add_f32_e32 v45, v113, v45
	v_add_f32_e32 v160, v60, v58
	;; [unrolled: 1-line block ×3, first 2 shown]
	v_mul_f32_e32 v113, 0xbf6f5d39, v130
	v_add_f32_e32 v84, v121, v84
	v_mul_f32_e32 v116, 0xbeb58ec6, v125
	v_fma_f32 v121, v160, s15, -v113
	v_sub_f32_e32 v161, v58, v60
	v_add_f32_e32 v72, v121, v72
	v_mov_b32_e32 v121, v116
	v_fmac_f32_e32 v121, 0xbf6f5d39, v161
	v_add_f32_e32 v73, v121, v73
	v_mul_f32_e32 v121, 0x3f29c268, v130
	v_mul_f32_e32 v124, 0xbf3f9e67, v125
	v_fma_f32 v132, v160, s16, -v121
	v_add_f32_e32 v74, v132, v74
	v_mov_b32_e32 v132, v124
	v_fmac_f32_e32 v132, 0x3f29c268, v161
	v_add_f32_e32 v75, v132, v75
	v_mul_f32_e32 v132, 0x3eedf032, v130
	v_mul_f32_e32 v134, 0x3f62ad3f, v125
	v_fma_f32 v135, v160, s14, -v132
	v_add_f32_e32 v76, v135, v76
	v_mov_b32_e32 v135, v134
	v_fmac_f32_e32 v135, 0x3eedf032, v161
	v_mul_f32_e32 v142, 0xbf7e222b, v130
	v_add_f32_e32 v77, v135, v77
	v_mul_f32_e32 v145, 0x3df6dbef, v125
	v_fma_f32 v135, v160, s12, -v142
	v_add_f32_e32 v78, v135, v78
	v_mov_b32_e32 v135, v145
	v_mul_f32_e32 v159, 0x3f52af12, v130
	v_fmac_f32_e32 v135, 0xbf7e222b, v161
	v_mul_f32_e32 v151, 0x3e750f2a, v130
	v_mul_f32_e32 v155, 0xbf788fa5, v125
	;; [unrolled: 1-line block ×3, first 2 shown]
	v_fma_f32 v125, v160, s13, -v159
	v_add_f32_e32 v79, v135, v79
	v_fma_f32 v135, v160, s17, -v151
	v_add_f32_e32 v44, v125, v44
	v_mov_b32_e32 v125, v163
	v_add_f32_e32 v83, v135, v83
	v_mov_b32_e32 v135, v155
	v_fmac_f32_e32 v125, 0x3f52af12, v161
	v_sub_f32_e32 v144, v69, v67
	v_fmac_f32_e32 v135, 0x3e750f2a, v161
	v_add_f32_e32 v45, v125, v45
	v_add_f32_e32 v168, v66, v68
	;; [unrolled: 1-line block ×3, first 2 shown]
	v_mul_f32_e32 v125, 0xbf29c268, v144
	v_add_f32_e32 v84, v135, v84
	v_mul_f32_e32 v130, 0xbf3f9e67, v139
	v_fma_f32 v135, v168, s16, -v125
	v_sub_f32_e32 v169, v68, v66
	v_add_f32_e32 v72, v135, v72
	v_mov_b32_e32 v135, v130
	v_fmac_f32_e32 v135, 0xbf29c268, v169
	v_add_f32_e32 v73, v135, v73
	v_mul_f32_e32 v135, 0x3f7e222b, v144
	v_mul_f32_e32 v138, 0x3df6dbef, v139
	v_fma_f32 v146, v168, s12, -v135
	v_add_f32_e32 v74, v146, v74
	v_mov_b32_e32 v146, v138
	v_fmac_f32_e32 v146, 0x3f7e222b, v169
	v_add_f32_e32 v75, v146, v75
	v_mul_f32_e32 v146, 0xbf52af12, v144
	v_mul_f32_e32 v148, 0x3f116cb1, v139
	v_fma_f32 v149, v168, s13, -v146
	v_add_f32_e32 v76, v149, v76
	v_mov_b32_e32 v149, v148
	v_fmac_f32_e32 v149, 0xbf52af12, v169
	v_mul_f32_e32 v156, 0x3e750f2a, v144
	v_add_f32_e32 v77, v149, v77
	v_mul_f32_e32 v157, 0xbf788fa5, v139
	v_fma_f32 v149, v168, s17, -v156
	v_add_f32_e32 v78, v149, v78
	v_mov_b32_e32 v149, v157
	v_fmac_f32_e32 v149, 0x3e750f2a, v169
	v_mul_f32_e32 v164, 0x3eedf032, v144
	v_mul_f32_e32 v170, 0xbf6f5d39, v144
	v_add_f32_e32 v79, v149, v79
	v_mul_f32_e32 v165, 0x3f62ad3f, v139
	v_fma_f32 v149, v168, s14, -v164
	v_mul_f32_e32 v171, 0xbeb58ec6, v139
	v_fma_f32 v139, v168, s15, -v170
	v_add_f32_e32 v83, v149, v83
	v_mov_b32_e32 v149, v165
	v_add_f32_e32 v178, v139, v44
	v_mov_b32_e32 v44, v171
	v_sub_f32_e32 v176, v71, v65
	v_fmac_f32_e32 v149, 0x3eedf032, v169
	v_fmac_f32_e32 v44, 0xbf6f5d39, v169
	v_add_f32_e32 v174, v64, v70
	v_mul_f32_e32 v139, 0xbe750f2a, v176
	v_add_f32_e32 v84, v149, v84
	v_add_f32_e32 v179, v44, v45
	;; [unrolled: 1-line block ×3, first 2 shown]
	v_fma_f32 v44, v174, s17, -v139
	v_mul_f32_e32 v149, 0x3eedf032, v176
	v_mul_f32_e32 v144, 0xbf788fa5, v177
	v_add_f32_e32 v44, v44, v72
	v_mul_f32_e32 v154, 0x3f62ad3f, v177
	v_fma_f32 v72, v174, s14, -v149
	v_sub_f32_e32 v175, v70, v64
	v_mov_b32_e32 v45, v144
	v_add_f32_e32 v74, v72, v74
	v_mov_b32_e32 v72, v154
	v_fmac_f32_e32 v45, 0xbe750f2a, v175
	v_fmac_f32_e32 v72, 0x3eedf032, v175
	v_mul_f32_e32 v158, 0xbf29c268, v176
	v_mul_f32_e32 v162, 0xbf3f9e67, v177
	v_add_f32_e32 v45, v45, v73
	v_add_f32_e32 v75, v72, v75
	v_fma_f32 v72, v174, s16, -v158
	v_mov_b32_e32 v73, v162
	v_mul_f32_e32 v166, 0x3f52af12, v176
	v_add_f32_e32 v72, v72, v76
	v_fmac_f32_e32 v73, 0xbf29c268, v175
	v_mul_f32_e32 v167, 0x3f116cb1, v177
	v_fma_f32 v76, v174, s13, -v166
	v_mul_f32_e32 v173, 0xbeb58ec6, v177
	v_add_f32_e32 v73, v73, v77
	v_add_f32_e32 v78, v76, v78
	v_mov_b32_e32 v76, v167
	v_mov_b32_e32 v77, v173
	v_fmac_f32_e32 v76, 0x3f52af12, v175
	v_mul_f32_e32 v172, 0xbf6f5d39, v176
	v_fmac_f32_e32 v77, 0xbf6f5d39, v175
	v_mul_f32_e32 v177, 0x3df6dbef, v177
	v_add_f32_e32 v79, v76, v79
	v_fma_f32 v76, v174, s15, -v172
	v_add_f32_e32 v77, v77, v84
	v_mul_f32_e32 v176, 0x3f7e222b, v176
	v_mov_b32_e32 v84, v177
	v_add_f32_e32 v76, v76, v83
	v_fma_f32 v83, v174, s12, -v176
	v_fmac_f32_e32 v84, 0x3f7e222b, v175
	v_add_f32_e32 v83, v83, v178
	v_add_f32_e32 v84, v84, v179
	s_barrier
	s_and_saveexec_b64 s[12:13], s[0:1]
	s_cbranch_execz .LBB0_17
; %bb.16:
	v_mul_f32_e32 v179, 0xbeedf032, v129
	v_mul_f32_e32 v181, 0xbf52af12, v129
	;; [unrolled: 1-line block ×12, first 2 shown]
	v_sub_f32_e32 v122, v122, v129
	v_mul_f32_e32 v199, 0xbf7e222b, v153
	v_mul_f32_e32 v201, 0xbe750f2a, v153
	v_mul_f32_e32 v203, 0x3f6f5d39, v153
	v_mul_f32_e32 v205, 0x3eedf032, v153
	v_mul_f32_e32 v207, 0xbf52af12, v153
	v_mul_f32_e32 v153, 0xbf29c268, v153
	v_add_f32_e32 v122, v82, v122
	v_sub_f32_e32 v129, v136, v143
	v_mul_f32_e32 v209, 0xbf6f5d39, v161
	v_mul_f32_e32 v211, 0x3f29c268, v161
	v_mul_f32_e32 v213, 0x3eedf032, v161
	v_mul_f32_e32 v215, 0xbf7e222b, v161
	v_mul_f32_e32 v217, 0x3e750f2a, v161
	v_mul_f32_e32 v161, 0x3f52af12, v161
	v_add_f32_e32 v122, v129, v122
	;; [unrolled: 8-line block ×3, first 2 shown]
	v_sub_f32_e32 v129, v163, v161
	v_mul_f32_e32 v178, 0x3f62ad3f, v128
	v_mul_f32_e32 v180, 0x3f116cb1, v128
	;; [unrolled: 1-line block ×12, first 2 shown]
	v_add_f32_e32 v122, v129, v122
	v_sub_f32_e32 v129, v171, v169
	v_mul_f32_e32 v188, 0x3f116cb1, v140
	v_mul_f32_e32 v190, 0xbeb58ec6, v140
	;; [unrolled: 1-line block ×6, first 2 shown]
	v_add_f32_e32 v122, v129, v122
	v_sub_f32_e32 v129, v177, v175
	v_add_f32_e32 v119, v128, v119
	v_mul_f32_e32 v198, 0x3df6dbef, v152
	v_mul_f32_e32 v200, 0xbf788fa5, v152
	;; [unrolled: 1-line block ×6, first 2 shown]
	v_add_f32_e32 v129, v129, v122
	v_add_f32_e32 v119, v81, v119
	;; [unrolled: 1-line block ×3, first 2 shown]
	v_mul_f32_e32 v208, 0xbeb58ec6, v160
	v_mul_f32_e32 v210, 0xbf3f9e67, v160
	v_mul_f32_e32 v212, 0x3f62ad3f, v160
	v_mul_f32_e32 v214, 0x3df6dbef, v160
	v_mul_f32_e32 v216, 0xbf788fa5, v160
	v_mul_f32_e32 v160, 0x3f116cb1, v160
	v_add_f32_e32 v119, v122, v119
	v_add_f32_e32 v122, v152, v147
	v_mul_f32_e32 v218, 0xbf3f9e67, v168
	v_mul_f32_e32 v220, 0x3df6dbef, v168
	v_mul_f32_e32 v222, 0x3f116cb1, v168
	v_mul_f32_e32 v224, 0xbf788fa5, v168
	v_mul_f32_e32 v226, 0x3f62ad3f, v168
	v_mul_f32_e32 v168, 0xbeb58ec6, v168
	v_add_f32_e32 v119, v122, v119
	v_add_f32_e32 v122, v160, v159
	;; [unrolled: 8-line block ×3, first 2 shown]
	v_add_f32_e32 v119, v122, v119
	v_add_f32_e32 v122, v174, v176
	v_sub_f32_e32 v114, v114, v187
	v_add_f32_e32 v128, v122, v119
	v_add_f32_e32 v114, v82, v114
	v_sub_f32_e32 v119, v126, v197
	v_add_f32_e32 v114, v119, v114
	v_sub_f32_e32 v119, v141, v207
	;; [unrolled: 2-line block ×5, first 2 shown]
	v_add_f32_e32 v111, v186, v111
	v_add_f32_e32 v141, v119, v114
	;; [unrolled: 1-line block ×14, first 2 shown]
	v_sub_f32_e32 v107, v107, v185
	v_add_f32_e32 v53, v57, v53
	v_add_f32_e32 v140, v114, v111
	;; [unrolled: 1-line block ×3, first 2 shown]
	v_sub_f32_e32 v111, v117, v195
	v_add_f32_e32 v53, v59, v53
	v_add_f32_e32 v107, v111, v107
	v_sub_f32_e32 v111, v131, v205
	v_add_f32_e32 v53, v69, v53
	v_add_f32_e32 v107, v111, v107
	;; [unrolled: 3-line block ×5, first 2 shown]
	v_add_f32_e32 v123, v111, v107
	v_add_f32_e32 v105, v81, v105
	;; [unrolled: 1-line block ×16, first 2 shown]
	v_sub_f32_e32 v101, v101, v183
	v_add_f32_e32 v51, v54, v51
	v_add_f32_e32 v122, v107, v105
	v_add_f32_e32 v101, v82, v101
	v_sub_f32_e32 v105, v109, v193
	v_add_f32_e32 v51, v56, v51
	v_add_f32_e32 v101, v105, v101
	v_sub_f32_e32 v105, v120, v203
	v_add_f32_e32 v51, v58, v51
	v_add_f32_e32 v101, v105, v101
	v_sub_f32_e32 v105, v134, v213
	v_add_f32_e32 v51, v68, v51
	v_add_f32_e32 v101, v105, v101
	v_sub_f32_e32 v105, v148, v223
	v_sub_f32_e32 v95, v95, v179
	v_add_f32_e32 v94, v178, v94
	v_add_f32_e32 v51, v70, v51
	;; [unrolled: 1-line block ×3, first 2 shown]
	v_sub_f32_e32 v105, v162, v233
	v_add_f32_e32 v100, v182, v100
	v_sub_f32_e32 v97, v97, v181
	v_add_f32_e32 v96, v180, v96
	v_add_f32_e32 v95, v82, v95
	v_sub_f32_e32 v99, v99, v189
	v_add_f32_e32 v94, v81, v94
	v_add_f32_e32 v98, v188, v98
	;; [unrolled: 1-line block ×7, first 2 shown]
	v_sub_f32_e32 v103, v103, v191
	v_add_f32_e32 v96, v81, v96
	v_add_f32_e32 v102, v190, v102
	v_add_f32_e32 v95, v99, v95
	v_sub_f32_e32 v99, v106, v199
	v_add_f32_e32 v94, v98, v94
	v_add_f32_e32 v98, v198, v104
	v_add_f32_e32 v51, v66, v51
	v_add_f32_e32 v100, v105, v100
	v_add_f32_e32 v105, v202, v118
	v_add_f32_e32 v97, v103, v97
	v_sub_f32_e32 v103, v112, v201
	v_add_f32_e32 v96, v102, v96
	v_add_f32_e32 v102, v200, v110
	v_add_f32_e32 v95, v99, v95
	v_sub_f32_e32 v99, v116, v209
	v_add_f32_e32 v94, v98, v94
	v_add_f32_e32 v98, v208, v113
	v_add_f32_e32 v51, v60, v51
	v_add_f32_e32 v100, v105, v100
	v_add_f32_e32 v105, v212, v132
	v_add_f32_e32 v97, v103, v97
	;; [unrolled: 11-line block ×4, first 2 shown]
	v_sub_f32_e32 v103, v154, v231
	v_add_f32_e32 v96, v102, v96
	v_add_f32_e32 v102, v230, v149
	;; [unrolled: 1-line block ×5, first 2 shown]
	v_lshl_add_u32 v50, v90, 3, v87
	v_add_f32_e32 v100, v105, v100
	v_add_f32_e32 v97, v103, v97
	;; [unrolled: 1-line block ×3, first 2 shown]
	ds_write2_b64 v50, v[48:49], v[94:95] offset1:1
	ds_write2_b64 v50, v[96:97], v[100:101] offset0:2 offset1:3
	ds_write2_b64 v50, v[122:123], v[140:141] offset0:4 offset1:5
	ds_write2_b64 v50, v[128:129], v[83:84] offset0:6 offset1:7
	ds_write2_b64 v50, v[76:77], v[78:79] offset0:8 offset1:9
	ds_write2_b64 v50, v[72:73], v[74:75] offset0:10 offset1:11
	ds_write_b64 v50, v[44:45] offset:96
.LBB0_17:
	s_or_b64 exec, exec, s[12:13]
	v_add_u32_e32 v52, 0x800, v88
	v_add_u32_e32 v62, 0x1000, v88
	s_waitcnt lgkmcnt(0)
	s_barrier
	ds_read2_b64 v[48:51], v88 offset1:143
	ds_read2_b64 v[56:59], v52 offset0:30 offset1:173
	ds_read2_b64 v[52:55], v62 offset0:60 offset1:203
	ds_read_b64 v[60:61], v88 offset:6864
	s_and_saveexec_b64 s[12:13], s[2:3]
	s_cbranch_execz .LBB0_19
; %bb.18:
	v_add_u32_e32 v44, 0x400, v88
	ds_read_b64 v[83:84], v88 offset:728
	ds_read2_b64 v[76:79], v44 offset0:106 offset1:249
	ds_read2_b64 v[72:75], v62 offset0:8 offset1:151
	v_add_u32_e32 v44, 0x1800, v88
	ds_read2_b64 v[44:47], v44 offset0:38 offset1:181
.LBB0_19:
	s_or_b64 exec, exec, s[12:13]
	s_waitcnt lgkmcnt(3)
	v_mul_f32_e32 v62, v17, v51
	v_mul_f32_e32 v17, v17, v50
	v_fmac_f32_e32 v62, v16, v50
	v_fma_f32 v16, v16, v51, -v17
	s_waitcnt lgkmcnt(2)
	v_mul_f32_e32 v17, v19, v57
	v_mul_f32_e32 v19, v19, v56
	v_fmac_f32_e32 v17, v18, v56
	v_fma_f32 v18, v18, v57, -v19
	v_mul_f32_e32 v19, v13, v59
	v_mul_f32_e32 v13, v13, v58
	v_fmac_f32_e32 v19, v12, v58
	v_fma_f32 v12, v12, v59, -v13
	s_waitcnt lgkmcnt(1)
	v_mul_f32_e32 v13, v15, v53
	v_mul_f32_e32 v15, v15, v52
	v_fmac_f32_e32 v13, v14, v52
	v_fma_f32 v14, v14, v53, -v15
	;; [unrolled: 9-line block ×3, first 2 shown]
	v_add_f32_e32 v23, v62, v21
	v_add_f32_e32 v50, v16, v22
	v_sub_f32_e32 v16, v16, v22
	v_add_f32_e32 v22, v17, v15
	v_add_f32_e32 v51, v18, v20
	v_sub_f32_e32 v15, v17, v15
	v_sub_f32_e32 v17, v18, v20
	v_add_f32_e32 v18, v19, v13
	v_add_f32_e32 v20, v12, v14
	v_sub_f32_e32 v12, v14, v12
	v_add_f32_e32 v14, v22, v23
	v_sub_f32_e32 v13, v13, v19
	v_add_f32_e32 v19, v51, v50
	v_add_f32_e32 v14, v18, v14
	v_sub_f32_e32 v21, v62, v21
	v_sub_f32_e32 v52, v22, v23
	;; [unrolled: 1-line block ×4, first 2 shown]
	v_add_f32_e32 v55, v12, v17
	v_sub_f32_e32 v56, v13, v15
	v_sub_f32_e32 v57, v12, v17
	v_sub_f32_e32 v59, v16, v12
	v_add_f32_e32 v18, v20, v19
	v_add_f32_e32 v12, v48, v14
	v_sub_f32_e32 v53, v51, v50
	v_sub_f32_e32 v50, v50, v20
	;; [unrolled: 1-line block ×3, first 2 shown]
	v_add_f32_e32 v54, v13, v15
	v_sub_f32_e32 v58, v21, v13
	v_add_f32_e32 v13, v49, v18
	v_mul_f32_e32 v49, 0x3f08b237, v56
	v_mov_b32_e32 v56, v12
	v_sub_f32_e32 v15, v15, v21
	v_sub_f32_e32 v17, v17, v16
	v_add_f32_e32 v19, v54, v21
	v_mul_f32_e32 v20, 0x3f4a47b2, v23
	v_mul_f32_e32 v21, 0x3f4a47b2, v50
	;; [unrolled: 1-line block ×5, first 2 shown]
	s_mov_b32 s14, 0xbf5ff5aa
	v_fmac_f32_e32 v56, 0xbf955555, v14
	v_mov_b32_e32 v14, v13
	s_mov_b32 s15, 0x3f3bfb3b
	s_mov_b32 s16, 0xbf3bfb3b
	v_add_f32_e32 v16, v55, v16
	v_mul_f32_e32 v54, 0xbf5ff5aa, v15
	v_mul_f32_e32 v55, 0xbf5ff5aa, v17
	v_fmac_f32_e32 v14, 0xbf955555, v18
	v_fma_f32 v18, v52, s15, -v23
	v_fma_f32 v23, v53, s15, -v48
	;; [unrolled: 1-line block ×3, first 2 shown]
	v_fmac_f32_e32 v20, 0x3d64c772, v22
	v_fma_f32 v22, v53, s16, -v21
	v_fmac_f32_e32 v21, 0x3d64c772, v51
	v_fma_f32 v51, v15, s14, -v49
	;; [unrolled: 2-line block ×3, first 2 shown]
	v_fmac_f32_e32 v50, 0xbeae86e6, v59
	s_mov_b32 s17, 0x3eae86e6
	v_fma_f32 v53, v58, s17, -v54
	v_fma_f32 v54, v59, s17, -v55
	v_add_f32_e32 v55, v20, v56
	v_add_f32_e32 v57, v21, v14
	v_fmac_f32_e32 v49, 0xbee1c552, v19
	v_fmac_f32_e32 v50, 0xbee1c552, v16
	v_add_f32_e32 v20, v18, v56
	v_add_f32_e32 v21, v23, v14
	;; [unrolled: 1-line block ×4, first 2 shown]
	v_fmac_f32_e32 v51, 0xbee1c552, v19
	v_fmac_f32_e32 v52, 0xbee1c552, v16
	;; [unrolled: 1-line block ×4, first 2 shown]
	v_add_f32_e32 v14, v50, v55
	v_sub_f32_e32 v15, v57, v49
	v_add_f32_e32 v16, v54, v23
	v_sub_f32_e32 v17, v48, v53
	v_sub_f32_e32 v18, v20, v52
	v_add_f32_e32 v19, v51, v21
	v_add_f32_e32 v20, v52, v20
	v_sub_f32_e32 v21, v21, v51
	v_sub_f32_e32 v22, v23, v54
	v_add_f32_e32 v23, v53, v48
	v_sub_f32_e32 v48, v55, v50
	v_add_f32_e32 v49, v49, v57
	s_barrier
	ds_write2_b64 v93, v[12:13], v[14:15] offset1:13
	ds_write2_b64 v93, v[16:17], v[18:19] offset0:26 offset1:39
	ds_write2_b64 v93, v[20:21], v[22:23] offset0:52 offset1:65
	ds_write_b64 v93, v[48:49] offset:624
	s_and_saveexec_b64 s[12:13], s[2:3]
	s_cbranch_execz .LBB0_21
; %bb.20:
	v_mul_f32_e32 v12, v1, v77
	v_mul_f32_e32 v13, v7, v47
	;; [unrolled: 1-line block ×4, first 2 shown]
	v_fmac_f32_e32 v12, v0, v76
	v_fmac_f32_e32 v13, v6, v46
	v_mul_f32_e32 v16, v9, v73
	v_fma_f32 v6, v6, v47, -v7
	v_fma_f32 v7, v0, v77, -v1
	v_mul_f32_e32 v0, v9, v72
	v_fmac_f32_e32 v16, v8, v72
	v_fma_f32 v8, v8, v73, -v0
	v_mul_f32_e32 v0, v11, v74
	v_fma_f32 v9, v10, v75, -v0
	v_add_f32_e32 v46, v6, v7
	v_add_f32_e32 v0, v8, v9
	v_mul_f32_e32 v15, v11, v75
	v_sub_f32_e32 v1, v46, v0
	v_fmac_f32_e32 v15, v10, v74
	v_mul_f32_e32 v20, v5, v45
	v_mul_f32_e32 v10, 0x3f4a47b2, v1
	;; [unrolled: 1-line block ×4, first 2 shown]
	v_fmac_f32_e32 v20, v4, v44
	v_fma_f32 v4, v4, v45, -v1
	v_mul_f32_e32 v1, v3, v78
	v_fmac_f32_e32 v19, v2, v78
	v_fma_f32 v2, v2, v79, -v1
	v_add_f32_e32 v5, v4, v2
	v_sub_f32_e32 v1, v0, v5
	v_mov_b32_e32 v3, v10
	v_mul_f32_e32 v11, 0x3d64c772, v1
	v_fmac_f32_e32 v3, 0x3d64c772, v1
	v_add_f32_e32 v1, v5, v46
	v_add_f32_e32 v0, v0, v1
	v_add_f32_e32 v1, v84, v0
	v_mov_b32_e32 v44, v1
	v_sub_f32_e32 v14, v12, v13
	v_fmac_f32_e32 v44, 0xbf955555, v0
	v_add_f32_e32 v12, v13, v12
	v_add_f32_e32 v0, v16, v15
	v_sub_f32_e32 v13, v12, v0
	v_sub_f32_e32 v17, v15, v16
	v_mul_f32_e32 v13, 0x3f4a47b2, v13
	v_add_f32_e32 v15, v20, v19
	v_sub_f32_e32 v21, v19, v20
	v_sub_f32_e32 v16, v0, v15
	v_mov_b32_e32 v20, v13
	v_mul_f32_e32 v19, 0x3d64c772, v16
	v_fmac_f32_e32 v20, 0x3d64c772, v16
	v_add_f32_e32 v16, v15, v12
	v_add_f32_e32 v16, v0, v16
	v_sub_f32_e32 v6, v7, v6
	v_sub_f32_e32 v7, v9, v8
	;; [unrolled: 1-line block ×4, first 2 shown]
	v_add_f32_e32 v0, v83, v16
	v_sub_f32_e32 v2, v7, v4
	v_sub_f32_e32 v18, v14, v17
	v_mul_f32_e32 v22, 0x3f08b237, v22
	v_add_f32_e32 v17, v17, v21
	v_mov_b32_e32 v47, v0
	v_sub_f32_e32 v8, v6, v7
	v_mul_f32_e32 v9, 0x3f08b237, v2
	v_add_f32_e32 v2, v7, v4
	v_sub_f32_e32 v7, v21, v14
	v_mov_b32_e32 v23, v22
	v_add_f32_e32 v17, v17, v14
	v_fmac_f32_e32 v47, 0xbf955555, v16
	v_add_f32_e32 v48, v2, v6
	v_mul_f32_e32 v14, 0xbf5ff5aa, v7
	v_sub_f32_e32 v6, v4, v6
	v_fmac_f32_e32 v23, 0xbeae86e6, v18
	v_add_f32_e32 v16, v20, v47
	v_mov_b32_e32 v20, v9
	v_fma_f32 v14, v18, s17, -v14
	v_sub_f32_e32 v18, v5, v46
	v_mul_f32_e32 v4, 0xbf5ff5aa, v6
	v_fmac_f32_e32 v20, 0xbeae86e6, v8
	v_fma_f32 v5, v18, s16, -v10
	v_sub_f32_e32 v12, v15, v12
	v_fma_f32 v15, v8, s17, -v4
	v_fma_f32 v8, v18, s15, -v11
	;; [unrolled: 1-line block ×3, first 2 shown]
	v_fmac_f32_e32 v14, 0xbee1c552, v17
	v_add_f32_e32 v10, v5, v44
	v_add_f32_e32 v8, v8, v44
	v_fmac_f32_e32 v11, 0xbee1c552, v17
	v_fmac_f32_e32 v23, 0xbee1c552, v17
	v_add_f32_e32 v5, v14, v10
	v_fma_f32 v13, v12, s16, -v13
	v_sub_f32_e32 v7, v8, v11
	v_fma_f32 v17, v6, s14, -v9
	v_fma_f32 v6, v12, s15, -v19
	v_add_f32_e32 v9, v11, v8
	v_sub_f32_e32 v11, v10, v14
	v_mul_u32_u24_e32 v14, 0x5b, v91
	v_add_f32_e32 v45, v3, v44
	v_fmac_f32_e32 v20, 0xbee1c552, v48
	v_add_f32_e32 v13, v13, v47
	v_fmac_f32_e32 v15, 0xbee1c552, v48
	v_fmac_f32_e32 v17, 0xbee1c552, v48
	v_add_f32_e32 v12, v6, v47
	v_add_u32_sdwa v14, v14, v92 dst_sel:DWORD dst_unused:UNUSED_PAD src0_sel:DWORD src1_sel:BYTE_0
	v_sub_f32_e32 v4, v13, v15
	v_add_f32_e32 v6, v17, v12
	v_sub_f32_e32 v8, v12, v17
	v_add_f32_e32 v10, v15, v13
	;; [unrolled: 2-line block ×3, first 2 shown]
	v_lshl_add_u32 v14, v14, 3, v87
	v_add_f32_e32 v3, v23, v45
	v_sub_f32_e32 v2, v16, v20
	ds_write2_b64 v14, v[0:1], v[12:13] offset1:13
	ds_write2_b64 v14, v[10:11], v[8:9] offset0:26 offset1:39
	ds_write2_b64 v14, v[6:7], v[4:5] offset0:52 offset1:65
	ds_write_b64 v14, v[2:3] offset:624
.LBB0_21:
	s_or_b64 exec, exec, s[12:13]
	s_waitcnt lgkmcnt(0)
	s_barrier
	ds_read_b64 v[20:21], v88
	ds_read2_b64 v[0:3], v88 offset0:91 offset1:182
	v_add_u32_e32 v4, 0x800, v88
	ds_read2_b64 v[4:7], v4 offset0:17 offset1:108
	v_add_u32_e32 v8, 0xc00, v88
	ds_read2_b64 v[8:11], v8 offset0:71 offset1:162
	s_waitcnt lgkmcnt(2)
	v_mul_f32_e32 v22, v37, v1
	v_add_u32_e32 v12, 0x1000, v88
	v_fmac_f32_e32 v22, v36, v0
	v_mul_f32_e32 v0, v37, v0
	ds_read2_b64 v[12:15], v12 offset0:125 offset1:216
	v_fma_f32 v23, v36, v1, -v0
	v_mul_f32_e32 v36, v39, v3
	v_mul_f32_e32 v0, v39, v2
	v_add_u32_e32 v16, 0x1800, v88
	v_fmac_f32_e32 v36, v38, v2
	v_fma_f32 v2, v38, v3, -v0
	s_waitcnt lgkmcnt(2)
	v_mul_f32_e32 v3, v33, v5
	v_mul_f32_e32 v0, v33, v4
	ds_read2_b64 v[16:19], v16 offset0:51 offset1:142
	v_fmac_f32_e32 v3, v32, v4
	v_fma_f32 v4, v32, v5, -v0
	v_mul_f32_e32 v5, v35, v7
	v_mul_f32_e32 v0, v35, v6
	v_fmac_f32_e32 v5, v34, v6
	v_fma_f32 v6, v34, v7, -v0
	s_waitcnt lgkmcnt(2)
	v_mul_f32_e32 v7, v29, v9
	v_mul_f32_e32 v0, v29, v8
	v_fmac_f32_e32 v7, v28, v8
	v_fma_f32 v8, v28, v9, -v0
	v_mul_f32_e32 v9, v31, v11
	v_mul_f32_e32 v0, v31, v10
	v_fmac_f32_e32 v9, v30, v10
	v_fma_f32 v10, v30, v11, -v0
	s_waitcnt lgkmcnt(1)
	v_mul_f32_e32 v11, v25, v13
	v_mul_f32_e32 v0, v25, v12
	;; [unrolled: 9-line block ×3, first 2 shown]
	v_fmac_f32_e32 v15, v40, v16
	v_fma_f32 v16, v40, v17, -v0
	v_mul_f32_e32 v17, v43, v19
	v_mul_f32_e32 v0, v43, v18
	v_add_f32_e32 v1, v21, v23
	v_fmac_f32_e32 v17, v42, v18
	v_fma_f32 v18, v42, v19, -v0
	v_add_f32_e32 v0, v20, v22
	v_add_f32_e32 v1, v1, v2
	;; [unrolled: 1-line block ×19, first 2 shown]
	v_sub_f32_e32 v18, v23, v18
	v_add_f32_e32 v0, v0, v17
	v_add_f32_e32 v19, v22, v17
	v_sub_f32_e32 v17, v22, v17
	v_mul_f32_e32 v22, 0xbf0a6770, v18
	v_mul_f32_e32 v27, 0xbf68dda4, v18
	;; [unrolled: 1-line block ×5, first 2 shown]
	s_mov_b32 s13, 0x3f575c64
	v_mov_b32_e32 v23, v22
	s_mov_b32 s3, 0x3ed4b147
	v_mov_b32_e32 v28, v27
	;; [unrolled: 2-line block ×5, first 2 shown]
	v_fmac_f32_e32 v23, 0x3f575c64, v19
	v_mul_f32_e32 v25, 0x3f575c64, v24
	v_fma_f32 v22, v19, s13, -v22
	v_fmac_f32_e32 v28, 0x3ed4b147, v19
	v_mul_f32_e32 v29, 0x3ed4b147, v24
	v_fma_f32 v27, v19, s3, -v27
	;; [unrolled: 3-line block ×5, first 2 shown]
	v_add_f32_e32 v23, v20, v23
	v_mov_b32_e32 v26, v25
	v_add_f32_e32 v22, v20, v22
	v_add_f32_e32 v28, v20, v28
	v_mov_b32_e32 v30, v29
	v_add_f32_e32 v27, v20, v27
	;; [unrolled: 3-line block ×5, first 2 shown]
	v_add_f32_e32 v20, v2, v16
	v_sub_f32_e32 v2, v2, v16
	v_fmac_f32_e32 v26, 0x3f0a6770, v17
	v_fmac_f32_e32 v25, 0xbf0a6770, v17
	;; [unrolled: 1-line block ×10, first 2 shown]
	v_mul_f32_e32 v16, 0xbf68dda4, v2
	v_add_f32_e32 v26, v21, v26
	v_add_f32_e32 v25, v21, v25
	v_add_f32_e32 v30, v21, v30
	v_add_f32_e32 v29, v21, v29
	v_add_f32_e32 v34, v21, v34
	v_add_f32_e32 v33, v21, v33
	v_add_f32_e32 v39, v21, v39
	v_add_f32_e32 v38, v21, v38
	v_add_f32_e32 v41, v21, v41
	v_add_f32_e32 v17, v21, v24
	v_add_f32_e32 v19, v36, v15
	v_mov_b32_e32 v21, v16
	v_fmac_f32_e32 v21, 0x3ed4b147, v19
	v_sub_f32_e32 v15, v36, v15
	v_add_f32_e32 v21, v21, v23
	v_mul_f32_e32 v23, 0x3ed4b147, v20
	v_mov_b32_e32 v24, v23
	v_fma_f32 v16, v19, s3, -v16
	v_fmac_f32_e32 v23, 0xbf68dda4, v15
	v_add_f32_e32 v16, v16, v22
	v_add_f32_e32 v22, v23, v25
	v_mul_f32_e32 v23, 0xbf4178ce, v2
	v_fmac_f32_e32 v24, 0x3f68dda4, v15
	v_mov_b32_e32 v25, v23
	v_add_f32_e32 v24, v24, v26
	v_fmac_f32_e32 v25, 0xbf27a4f4, v19
	v_mul_f32_e32 v26, 0xbf27a4f4, v20
	v_fma_f32 v23, v19, s14, -v23
	v_add_f32_e32 v25, v25, v28
	v_mov_b32_e32 v28, v26
	v_add_f32_e32 v23, v23, v27
	v_fmac_f32_e32 v26, 0xbf4178ce, v15
	v_mul_f32_e32 v27, 0x3e903f40, v2
	v_fmac_f32_e32 v28, 0x3f4178ce, v15
	v_add_f32_e32 v26, v26, v29
	v_mov_b32_e32 v29, v27
	v_add_f32_e32 v28, v28, v30
	v_fmac_f32_e32 v29, 0xbf75a155, v19
	v_mul_f32_e32 v30, 0xbf75a155, v20
	v_fma_f32 v27, v19, s15, -v27
	v_add_f32_e32 v29, v29, v32
	v_mov_b32_e32 v32, v30
	v_add_f32_e32 v27, v27, v31
	v_fmac_f32_e32 v30, 0x3e903f40, v15
	v_mul_f32_e32 v31, 0x3f7d64f0, v2
	v_fmac_f32_e32 v32, 0xbe903f40, v15
	v_add_f32_e32 v30, v30, v33
	v_mov_b32_e32 v33, v31
	v_fma_f32 v31, v19, s12, -v31
	v_mul_f32_e32 v2, 0x3f0a6770, v2
	v_add_f32_e32 v32, v32, v34
	v_fmac_f32_e32 v33, 0xbe11bafb, v19
	v_mul_f32_e32 v34, 0xbe11bafb, v20
	v_add_f32_e32 v31, v31, v35
	v_mov_b32_e32 v35, v2
	v_mul_f32_e32 v20, 0x3f575c64, v20
	v_fma_f32 v2, v19, s13, -v2
	v_add_f32_e32 v33, v33, v37
	v_mov_b32_e32 v36, v34
	v_mov_b32_e32 v37, v20
	v_add_f32_e32 v2, v2, v18
	v_fmac_f32_e32 v20, 0x3f0a6770, v15
	v_add_f32_e32 v18, v4, v14
	v_sub_f32_e32 v4, v4, v14
	v_fmac_f32_e32 v36, 0xbf7d64f0, v15
	v_fmac_f32_e32 v34, 0x3f7d64f0, v15
	;; [unrolled: 1-line block ×4, first 2 shown]
	v_add_f32_e32 v15, v20, v17
	v_add_f32_e32 v17, v3, v13
	v_sub_f32_e32 v3, v3, v13
	v_mul_f32_e32 v13, 0xbf7d64f0, v4
	v_mul_f32_e32 v19, 0xbe11bafb, v18
	v_mov_b32_e32 v14, v13
	v_mov_b32_e32 v20, v19
	v_fma_f32 v13, v17, s12, -v13
	v_fmac_f32_e32 v19, 0xbf7d64f0, v3
	v_fmac_f32_e32 v14, 0xbe11bafb, v17
	v_add_f32_e32 v13, v13, v16
	v_add_f32_e32 v16, v19, v22
	v_mul_f32_e32 v19, 0x3e903f40, v4
	v_add_f32_e32 v14, v14, v21
	v_mov_b32_e32 v21, v19
	v_fma_f32 v19, v17, s15, -v19
	v_fmac_f32_e32 v20, 0x3f7d64f0, v3
	v_fmac_f32_e32 v21, 0xbf75a155, v17
	v_mul_f32_e32 v22, 0xbf75a155, v18
	v_add_f32_e32 v19, v19, v23
	v_mul_f32_e32 v23, 0x3f68dda4, v4
	v_add_f32_e32 v20, v20, v24
	v_add_f32_e32 v21, v21, v25
	v_mov_b32_e32 v24, v22
	v_fmac_f32_e32 v22, 0x3e903f40, v3
	v_mov_b32_e32 v25, v23
	v_fma_f32 v23, v17, s3, -v23
	v_fmac_f32_e32 v24, 0xbe903f40, v3
	v_add_f32_e32 v22, v22, v26
	v_fmac_f32_e32 v25, 0x3ed4b147, v17
	v_mul_f32_e32 v26, 0x3ed4b147, v18
	v_add_f32_e32 v23, v23, v27
	v_mul_f32_e32 v27, 0xbf0a6770, v4
	v_add_f32_e32 v24, v24, v28
	v_add_f32_e32 v25, v25, v29
	v_mov_b32_e32 v28, v26
	v_fmac_f32_e32 v26, 0x3f68dda4, v3
	v_mov_b32_e32 v29, v27
	v_fmac_f32_e32 v28, 0xbf68dda4, v3
	v_add_f32_e32 v26, v26, v30
	v_fmac_f32_e32 v29, 0x3f575c64, v17
	v_mul_f32_e32 v30, 0x3f575c64, v18
	v_mul_f32_e32 v18, 0xbf27a4f4, v18
	v_add_f32_e32 v28, v28, v32
	v_add_f32_e32 v29, v29, v33
	v_mov_b32_e32 v32, v30
	v_fma_f32 v27, v17, s13, -v27
	v_mul_f32_e32 v4, 0xbf4178ce, v4
	v_mov_b32_e32 v33, v18
	v_fmac_f32_e32 v18, 0xbf4178ce, v3
	v_fmac_f32_e32 v32, 0x3f0a6770, v3
	v_add_f32_e32 v27, v27, v31
	v_fmac_f32_e32 v30, 0xbf0a6770, v3
	v_mov_b32_e32 v31, v4
	v_fmac_f32_e32 v33, 0x3f4178ce, v3
	v_fma_f32 v4, v17, s14, -v4
	v_add_f32_e32 v3, v18, v15
	v_add_f32_e32 v15, v6, v12
	v_sub_f32_e32 v6, v6, v12
	v_add_f32_e32 v2, v4, v2
	v_add_f32_e32 v4, v5, v11
	v_sub_f32_e32 v5, v5, v11
	v_mul_f32_e32 v11, 0xbf4178ce, v6
	v_mov_b32_e32 v12, v11
	v_fmac_f32_e32 v12, 0xbf27a4f4, v4
	v_add_f32_e32 v12, v12, v14
	v_mul_f32_e32 v14, 0xbf27a4f4, v15
	v_fmac_f32_e32 v31, 0xbf27a4f4, v17
	v_mov_b32_e32 v17, v14
	v_fma_f32 v11, v4, s14, -v11
	v_fmac_f32_e32 v14, 0xbf4178ce, v5
	v_add_f32_e32 v11, v11, v13
	v_add_f32_e32 v13, v14, v16
	v_mul_f32_e32 v14, 0x3f7d64f0, v6
	v_mov_b32_e32 v16, v14
	v_fma_f32 v14, v4, s12, -v14
	v_fmac_f32_e32 v17, 0x3f4178ce, v5
	v_fmac_f32_e32 v16, 0xbe11bafb, v4
	v_mul_f32_e32 v18, 0xbe11bafb, v15
	v_add_f32_e32 v14, v14, v19
	v_mul_f32_e32 v19, 0xbf0a6770, v6
	v_add_f32_e32 v17, v17, v20
	v_add_f32_e32 v16, v16, v21
	v_mov_b32_e32 v20, v18
	v_fmac_f32_e32 v18, 0x3f7d64f0, v5
	v_mov_b32_e32 v21, v19
	v_fma_f32 v19, v4, s13, -v19
	v_fmac_f32_e32 v20, 0xbf7d64f0, v5
	v_add_f32_e32 v18, v18, v22
	v_fmac_f32_e32 v21, 0x3f575c64, v4
	v_mul_f32_e32 v22, 0x3f575c64, v15
	v_add_f32_e32 v19, v19, v23
	v_mul_f32_e32 v23, 0xbe903f40, v6
	v_add_f32_e32 v20, v20, v24
	v_add_f32_e32 v21, v21, v25
	v_mov_b32_e32 v24, v22
	v_fmac_f32_e32 v22, 0xbf0a6770, v5
	v_mov_b32_e32 v25, v23
	v_fma_f32 v23, v4, s15, -v23
	v_mul_f32_e32 v6, 0x3f68dda4, v6
	v_add_f32_e32 v34, v34, v38
	v_add_f32_e32 v35, v35, v40
	v_fmac_f32_e32 v24, 0x3f0a6770, v5
	v_add_f32_e32 v22, v22, v26
	v_mul_f32_e32 v26, 0xbf75a155, v15
	v_add_f32_e32 v23, v23, v27
	v_mov_b32_e32 v27, v6
	v_add_f32_e32 v36, v36, v39
	v_add_f32_e32 v30, v30, v34
	;; [unrolled: 1-line block ×4, first 2 shown]
	v_fmac_f32_e32 v25, 0xbf75a155, v4
	v_mov_b32_e32 v28, v26
	v_fmac_f32_e32 v26, 0xbe903f40, v5
	v_fmac_f32_e32 v27, 0x3ed4b147, v4
	v_mul_f32_e32 v15, 0x3ed4b147, v15
	v_fma_f32 v4, v4, s3, -v6
	v_sub_f32_e32 v35, v8, v10
	v_add_f32_e32 v37, v37, v41
	v_add_f32_e32 v32, v32, v36
	;; [unrolled: 1-line block ×3, first 2 shown]
	v_fmac_f32_e32 v28, 0x3e903f40, v5
	v_add_f32_e32 v26, v26, v30
	v_mov_b32_e32 v29, v15
	v_add_f32_e32 v30, v4, v2
	v_mul_f32_e32 v4, 0xbe903f40, v35
	v_add_f32_e32 v33, v33, v37
	v_add_f32_e32 v28, v28, v32
	v_fmac_f32_e32 v29, 0xbf68dda4, v5
	v_add_f32_e32 v32, v7, v9
	v_mov_b32_e32 v2, v4
	v_add_f32_e32 v29, v29, v33
	v_add_f32_e32 v33, v8, v10
	v_fmac_f32_e32 v2, 0xbf75a155, v32
	v_sub_f32_e32 v34, v7, v9
	v_add_f32_e32 v2, v2, v12
	v_mul_f32_e32 v9, 0x3f575c64, v33
	v_mul_f32_e32 v12, 0xbf4178ce, v35
	v_fmac_f32_e32 v15, 0x3f68dda4, v5
	v_mul_f32_e32 v5, 0xbf75a155, v33
	v_mul_f32_e32 v8, 0x3f0a6770, v35
	v_mov_b32_e32 v7, v9
	v_mov_b32_e32 v10, v12
	v_add_f32_e32 v27, v27, v31
	v_add_f32_e32 v31, v15, v3
	v_mov_b32_e32 v3, v5
	v_mov_b32_e32 v6, v8
	v_fmac_f32_e32 v7, 0xbf0a6770, v34
	v_fmac_f32_e32 v10, 0xbf27a4f4, v32
	;; [unrolled: 1-line block ×5, first 2 shown]
	v_add_f32_e32 v7, v7, v20
	v_fmac_f32_e32 v9, 0x3f0a6770, v34
	v_add_f32_e32 v10, v10, v21
	v_fma_f32 v12, v32, s14, -v12
	v_mul_f32_e32 v20, 0xbf7d64f0, v35
	v_mul_f32_e32 v21, 0xbe11bafb, v33
	v_add_f32_e32 v3, v3, v17
	v_fma_f32 v4, v32, s15, -v4
	v_add_f32_e32 v5, v5, v13
	v_add_f32_e32 v6, v6, v16
	v_fma_f32 v8, v32, s13, -v8
	v_add_f32_e32 v9, v9, v18
	v_mul_f32_e32 v13, 0xbf27a4f4, v33
	v_add_f32_e32 v12, v12, v19
	v_mul_f32_e32 v16, 0x3f68dda4, v35
	v_mul_f32_e32 v17, 0x3ed4b147, v33
	v_mov_b32_e32 v18, v20
	v_mov_b32_e32 v19, v21
	v_add_f32_e32 v4, v4, v11
	v_add_f32_e32 v8, v8, v14
	v_mov_b32_e32 v11, v13
	v_mov_b32_e32 v14, v16
	;; [unrolled: 1-line block ×3, first 2 shown]
	v_fmac_f32_e32 v18, 0xbe11bafb, v32
	v_fmac_f32_e32 v19, 0x3f7d64f0, v34
	v_fma_f32 v20, v32, s12, -v20
	v_fmac_f32_e32 v21, 0xbf7d64f0, v34
	v_fmac_f32_e32 v11, 0x3f4178ce, v34
	;; [unrolled: 1-line block ×5, first 2 shown]
	v_fma_f32 v16, v32, s3, -v16
	v_fmac_f32_e32 v17, 0x3f68dda4, v34
	v_add_f32_e32 v18, v18, v27
	v_add_f32_e32 v19, v19, v29
	;; [unrolled: 1-line block ×4, first 2 shown]
	ds_write_b64 v89, v[0:1]
	ds_write2_b64 v89, v[2:3], v[6:7] offset0:91 offset1:182
	v_add_u32_e32 v0, 0xc00, v89
	s_movk_i32 s2, 0x1000
	v_add_f32_e32 v11, v11, v24
	v_add_f32_e32 v13, v13, v22
	;; [unrolled: 1-line block ×6, first 2 shown]
	v_add_u32_e32 v2, 0x800, v89
	ds_write2_b64 v0, v[18:19], v[20:21] offset0:71 offset1:162
	v_add_u32_e32 v1, 0x1000, v89
	v_add_u32_e32 v0, 0x1800, v89
	ds_write2_b64 v2, v[10:11], v[14:15] offset0:17 offset1:108
	ds_write2_b64 v1, v[16:17], v[12:13] offset0:125 offset1:216
	;; [unrolled: 1-line block ×3, first 2 shown]
	s_waitcnt lgkmcnt(0)
	s_barrier
	s_and_b64 exec, exec, s[0:1]
	s_cbranch_execz .LBB0_23
; %bb.22:
	global_load_dwordx2 v[11:12], v86, s[10:11]
	global_load_dwordx2 v[13:14], v86, s[10:11] offset:616
	global_load_dwordx2 v[15:16], v86, s[10:11] offset:1232
	;; [unrolled: 1-line block ×3, first 2 shown]
	ds_read_b64 v[21:22], v89
	ds_read2_b64 v[3:6], v89 offset0:77 offset1:154
	global_load_dwordx2 v[25:26], v86, s[10:11] offset:2464
	global_load_dwordx2 v[27:28], v86, s[10:11] offset:3080
	global_load_dwordx2 v[29:30], v86, s[10:11] offset:3696
	v_mad_u64_u32 v[19:20], s[0:1], s6, v80, 0
	v_mad_u64_u32 v[23:24], s[12:13], s4, v85, 0
	v_mov_b32_e32 v41, s9
	s_mul_i32 s6, s5, 0x268
	s_mul_hi_u32 s9, s4, 0x268
	s_mul_i32 s3, s4, 0x268
	s_add_i32 s4, s9, s6
	s_waitcnt lgkmcnt(1)
	v_mad_u64_u32 v[33:34], s[6:7], s7, v80, v[20:21]
	v_mov_b32_e32 v7, s11
	v_add_co_u32_e32 v31, vcc, s10, v86
	v_addc_co_u32_e32 v32, vcc, 0, v7, vcc
	v_add_co_u32_e32 v31, vcc, s2, v31
	v_mov_b32_e32 v20, v33
	v_add_u32_e32 v8, 0x400, v89
	v_addc_co_u32_e32 v32, vcc, 0, v32, vcc
	v_lshlrev_b64 v[19:20], 3, v[19:20]
	ds_read2_b64 v[7:10], v8 offset0:103 offset1:180
	v_add_co_u32_e32 v19, vcc, s8, v19
	v_addc_co_u32_e32 v20, vcc, v41, v20, vcc
	v_mov_b32_e32 v42, s4
	s_mov_b32 s0, 0x27a3ee9c
	s_mov_b32 s1, 0x3f505e1d
	v_mov_b32_e32 v43, s4
	s_waitcnt vmcnt(6)
	v_mul_f32_e32 v33, v22, v12
	v_mul_f32_e32 v12, v21, v12
	s_waitcnt vmcnt(4) lgkmcnt(1)
	v_mul_f32_e32 v41, v6, v16
	v_mul_f32_e32 v16, v5, v16
	s_waitcnt vmcnt(2)
	v_mad_u64_u32 v[34:35], s[6:7], s5, v85, v[24:25]
	global_load_dwordx2 v[35:36], v[31:32], off offset:216
	global_load_dwordx2 v[37:38], v[31:32], off offset:832
	;; [unrolled: 1-line block ×3, first 2 shown]
	v_fmac_f32_e32 v33, v21, v11
	v_mov_b32_e32 v24, v34
	v_lshlrev_b64 v[23:24], 3, v[23:24]
	v_mul_f32_e32 v34, v4, v14
	v_add_co_u32_e32 v19, vcc, v19, v23
	v_addc_co_u32_e32 v20, vcc, v20, v24, vcc
	v_add_co_u32_e32 v23, vcc, s3, v19
	v_mul_f32_e32 v14, v3, v14
	v_fma_f32 v11, v11, v22, -v12
	v_addc_co_u32_e32 v24, vcc, v20, v42, vcc
	s_waitcnt lgkmcnt(0)
	v_mul_f32_e32 v42, v8, v18
	v_mul_f32_e32 v18, v7, v18
	v_fmac_f32_e32 v34, v3, v13
	v_fma_f32 v12, v13, v4, -v14
	v_fmac_f32_e32 v41, v5, v15
	v_fma_f32 v15, v15, v6, -v16
	v_cvt_f64_f32_e32 v[3:4], v33
	v_cvt_f64_f32_e32 v[5:6], v11
	v_fmac_f32_e32 v42, v7, v17
	v_fma_f32 v21, v17, v8, -v18
	v_cvt_f64_f32_e32 v[7:8], v34
	v_cvt_f64_f32_e32 v[11:12], v12
	v_mul_f64 v[3:4], v[3:4], s[0:1]
	v_mul_f64 v[5:6], v[5:6], s[0:1]
	v_cvt_f64_f32_e32 v[13:14], v41
	v_mul_f64 v[7:8], v[7:8], s[0:1]
	v_mul_f64 v[11:12], v[11:12], s[0:1]
	v_cvt_f64_f32_e32 v[15:16], v15
	v_mul_f64 v[13:14], v[13:14], s[0:1]
	v_cvt_f64_f32_e32 v[17:18], v42
	v_cvt_f32_f64_e32 v3, v[3:4]
	v_cvt_f32_f64_e32 v4, v[5:6]
	v_mul_f64 v[15:16], v[15:16], s[0:1]
	v_cvt_f32_f64_e32 v5, v[7:8]
	v_cvt_f32_f64_e32 v6, v[11:12]
	global_store_dwordx2 v[19:20], v[3:4], off
	global_store_dwordx2 v[23:24], v[5:6], off
	v_cvt_f32_f64_e32 v7, v[13:14]
	global_load_dwordx2 v[13:14], v[31:32], off offset:1448
	v_mul_f64 v[17:18], v[17:18], s[0:1]
	v_mul_f32_e32 v3, v10, v26
	v_fmac_f32_e32 v3, v9, v25
	v_cvt_f64_f32_e32 v[3:4], v3
	v_cvt_f32_f64_e32 v8, v[15:16]
	v_add_co_u32_e32 v11, vcc, s3, v23
	v_addc_co_u32_e32 v12, vcc, v24, v43, vcc
	v_mul_f64 v[15:16], v[3:4], s[0:1]
	v_mul_f32_e32 v3, v9, v26
	v_cvt_f32_f64_e32 v6, v[17:18]
	v_mov_b32_e32 v17, s4
	v_fma_f32 v3, v25, v10, -v3
	v_add_co_u32_e32 v10, vcc, s3, v11
	v_cvt_f64_f32_e32 v[21:22], v21
	global_store_dwordx2 v[11:12], v[7:8], off
	v_addc_co_u32_e32 v11, vcc, v12, v17, vcc
	global_load_dwordx2 v[17:18], v[31:32], off offset:2064
	v_mul_f64 v[21:22], v[21:22], s[0:1]
	v_cvt_f64_f32_e32 v[8:9], v3
	ds_read2_b64 v[2:5], v2 offset0:129 offset1:206
	v_mov_b32_e32 v12, s4
	v_cvt_f32_f64_e32 v7, v[21:22]
	global_store_dwordx2 v[10:11], v[6:7], off
	v_mul_f64 v[7:8], v[8:9], s[0:1]
	s_waitcnt vmcnt(10) lgkmcnt(0)
	v_mul_f32_e32 v9, v3, v28
	v_fmac_f32_e32 v9, v2, v27
	v_mul_f32_e32 v2, v2, v28
	v_fma_f32 v2, v27, v3, -v2
	v_cvt_f64_f32_e32 v[2:3], v2
	v_cvt_f32_f64_e32 v6, v[15:16]
	v_cvt_f64_f32_e32 v[15:16], v9
	v_cvt_f32_f64_e32 v7, v[7:8]
	v_mul_f64 v[2:3], v[2:3], s[0:1]
	v_add_co_u32_e32 v10, vcc, s3, v10
	v_mul_f64 v[8:9], v[15:16], s[0:1]
	v_addc_co_u32_e32 v11, vcc, v11, v12, vcc
	global_store_dwordx2 v[10:11], v[6:7], off
	v_add_co_u32_e32 v10, vcc, s3, v10
	v_cvt_f32_f64_e32 v7, v[2:3]
	s_waitcnt vmcnt(10)
	v_mul_f32_e32 v2, v5, v30
	v_fmac_f32_e32 v2, v4, v29
	v_cvt_f32_f64_e32 v6, v[8:9]
	v_cvt_f64_f32_e32 v[8:9], v2
	v_mul_f32_e32 v2, v4, v30
	v_fma_f32 v2, v29, v5, -v2
	v_cvt_f64_f32_e32 v[15:16], v2
	ds_read2_b64 v[1:4], v1 offset0:27 offset1:104
	v_addc_co_u32_e32 v11, vcc, v11, v12, vcc
	global_store_dwordx2 v[10:11], v[6:7], off
	v_mul_f64 v[5:6], v[8:9], s[0:1]
	s_waitcnt vmcnt(10) lgkmcnt(0)
	v_mul_f32_e32 v9, v2, v36
	v_mul_f64 v[7:8], v[15:16], s[0:1]
	v_fmac_f32_e32 v9, v1, v35
	v_mul_f32_e32 v1, v1, v36
	v_fma_f32 v1, v35, v2, -v1
	v_cvt_f64_f32_e32 v[1:2], v1
	v_cvt_f64_f32_e32 v[15:16], v9
	v_cvt_f32_f64_e32 v5, v[5:6]
	v_add_co_u32_e32 v9, vcc, s3, v10
	v_mul_f64 v[1:2], v[1:2], s[0:1]
	v_cvt_f32_f64_e32 v6, v[7:8]
	v_mul_f64 v[7:8], v[15:16], s[0:1]
	v_addc_co_u32_e32 v10, vcc, v11, v12, vcc
	global_store_dwordx2 v[9:10], v[5:6], off
	v_mov_b32_e32 v15, s4
	v_add_co_u32_e32 v9, vcc, s3, v9
	v_cvt_f32_f64_e32 v6, v[1:2]
	s_waitcnt vmcnt(10)
	v_mul_f32_e32 v1, v4, v38
	v_fmac_f32_e32 v1, v3, v37
	v_cvt_f32_f64_e32 v5, v[7:8]
	v_cvt_f64_f32_e32 v[7:8], v1
	v_mul_f32_e32 v1, v3, v38
	v_fma_f32 v1, v37, v4, -v1
	v_cvt_f64_f32_e32 v[11:12], v1
	v_add_u32_e32 v1, 0x1400, v89
	ds_read2_b64 v[1:4], v1 offset0:53 offset1:130
	v_addc_co_u32_e32 v10, vcc, v10, v15, vcc
	global_store_dwordx2 v[9:10], v[5:6], off
	v_mul_f64 v[5:6], v[7:8], s[0:1]
	v_mul_f64 v[7:8], v[11:12], s[0:1]
	s_waitcnt vmcnt(7) lgkmcnt(0)
	v_mul_f32_e32 v11, v2, v14
	v_fmac_f32_e32 v11, v1, v13
	v_mul_f32_e32 v1, v1, v14
	v_fma_f32 v1, v13, v2, -v1
	v_cvt_f64_f32_e32 v[1:2], v1
	v_cvt_f64_f32_e32 v[11:12], v11
	v_cvt_f32_f64_e32 v5, v[5:6]
	v_cvt_f32_f64_e32 v6, v[7:8]
	v_mul_f64 v[1:2], v[1:2], s[0:1]
	v_mul_f64 v[7:8], v[11:12], s[0:1]
	v_mov_b32_e32 v11, s4
	v_add_co_u32_e32 v9, vcc, s3, v9
	v_addc_co_u32_e32 v10, vcc, v10, v11, vcc
	global_store_dwordx2 v[9:10], v[5:6], off
	v_cvt_f32_f64_e32 v6, v[1:2]
	s_waitcnt vmcnt(6)
	v_mul_f32_e32 v1, v4, v18
	v_fmac_f32_e32 v1, v3, v17
	v_cvt_f32_f64_e32 v5, v[7:8]
	v_cvt_f64_f32_e32 v[7:8], v1
	v_mul_f32_e32 v1, v3, v18
	v_fma_f32 v1, v17, v4, -v1
	v_cvt_f64_f32_e32 v[11:12], v1
	ds_read2_b64 v[0:3], v0 offset0:79 offset1:156
	v_mov_b32_e32 v13, s4
	v_add_co_u32_e32 v9, vcc, s3, v9
	v_addc_co_u32_e32 v10, vcc, v10, v13, vcc
	global_store_dwordx2 v[9:10], v[5:6], off
	v_mul_f64 v[4:5], v[7:8], s[0:1]
	v_mul_f64 v[6:7], v[11:12], s[0:1]
	s_waitcnt lgkmcnt(0)
	v_mul_f32_e32 v8, v1, v40
	v_fmac_f32_e32 v8, v0, v39
	v_mul_f32_e32 v0, v0, v40
	v_fma_f32 v0, v39, v1, -v0
	v_cvt_f64_f32_e32 v[11:12], v8
	v_cvt_f64_f32_e32 v[0:1], v0
	v_cvt_f32_f64_e32 v4, v[4:5]
	v_cvt_f32_f64_e32 v5, v[6:7]
	v_mul_f64 v[6:7], v[11:12], s[0:1]
	v_mul_f64 v[0:1], v[0:1], s[0:1]
	v_mov_b32_e32 v11, s4
	v_add_co_u32_e32 v8, vcc, s3, v9
	v_addc_co_u32_e32 v9, vcc, v10, v11, vcc
	global_store_dwordx2 v[8:9], v[4:5], off
	v_cvt_f32_f64_e32 v4, v[6:7]
	v_cvt_f32_f64_e32 v5, v[0:1]
	v_mov_b32_e32 v1, s4
	v_add_co_u32_e32 v0, vcc, s3, v8
	v_addc_co_u32_e32 v1, vcc, v9, v1, vcc
	global_store_dwordx2 v[0:1], v[4:5], off
	global_load_dwordx2 v[4:5], v[31:32], off offset:3296
	v_add_co_u32_e32 v0, vcc, s3, v0
	s_waitcnt vmcnt(0)
	v_mul_f32_e32 v6, v3, v5
	v_fmac_f32_e32 v6, v2, v4
	v_mul_f32_e32 v2, v2, v5
	v_fma_f32 v2, v4, v3, -v2
	v_cvt_f64_f32_e32 v[6:7], v6
	v_cvt_f64_f32_e32 v[2:3], v2
	v_mul_f64 v[4:5], v[6:7], s[0:1]
	v_mul_f64 v[2:3], v[2:3], s[0:1]
	v_cvt_f32_f64_e32 v4, v[4:5]
	v_cvt_f32_f64_e32 v5, v[2:3]
	v_mov_b32_e32 v2, s4
	v_addc_co_u32_e32 v1, vcc, v1, v2, vcc
	global_store_dwordx2 v[0:1], v[4:5], off
.LBB0_23:
	s_endpgm
	.section	.rodata,"a",@progbits
	.p2align	6, 0x0
	.amdhsa_kernel bluestein_single_back_len1001_dim1_sp_op_CI_CI
		.amdhsa_group_segment_fixed_size 16016
		.amdhsa_private_segment_fixed_size 0
		.amdhsa_kernarg_size 104
		.amdhsa_user_sgpr_count 6
		.amdhsa_user_sgpr_private_segment_buffer 1
		.amdhsa_user_sgpr_dispatch_ptr 0
		.amdhsa_user_sgpr_queue_ptr 0
		.amdhsa_user_sgpr_kernarg_segment_ptr 1
		.amdhsa_user_sgpr_dispatch_id 0
		.amdhsa_user_sgpr_flat_scratch_init 0
		.amdhsa_user_sgpr_private_segment_size 0
		.amdhsa_uses_dynamic_stack 0
		.amdhsa_system_sgpr_private_segment_wavefront_offset 0
		.amdhsa_system_sgpr_workgroup_id_x 1
		.amdhsa_system_sgpr_workgroup_id_y 0
		.amdhsa_system_sgpr_workgroup_id_z 0
		.amdhsa_system_sgpr_workgroup_info 0
		.amdhsa_system_vgpr_workitem_id 0
		.amdhsa_next_free_vgpr 238
		.amdhsa_next_free_sgpr 18
		.amdhsa_reserve_vcc 1
		.amdhsa_reserve_flat_scratch 0
		.amdhsa_float_round_mode_32 0
		.amdhsa_float_round_mode_16_64 0
		.amdhsa_float_denorm_mode_32 3
		.amdhsa_float_denorm_mode_16_64 3
		.amdhsa_dx10_clamp 1
		.amdhsa_ieee_mode 1
		.amdhsa_fp16_overflow 0
		.amdhsa_exception_fp_ieee_invalid_op 0
		.amdhsa_exception_fp_denorm_src 0
		.amdhsa_exception_fp_ieee_div_zero 0
		.amdhsa_exception_fp_ieee_overflow 0
		.amdhsa_exception_fp_ieee_underflow 0
		.amdhsa_exception_fp_ieee_inexact 0
		.amdhsa_exception_int_div_zero 0
	.end_amdhsa_kernel
	.text
.Lfunc_end0:
	.size	bluestein_single_back_len1001_dim1_sp_op_CI_CI, .Lfunc_end0-bluestein_single_back_len1001_dim1_sp_op_CI_CI
                                        ; -- End function
	.section	.AMDGPU.csdata,"",@progbits
; Kernel info:
; codeLenInByte = 17108
; NumSgprs: 22
; NumVgprs: 238
; ScratchSize: 0
; MemoryBound: 0
; FloatMode: 240
; IeeeMode: 1
; LDSByteSize: 16016 bytes/workgroup (compile time only)
; SGPRBlocks: 2
; VGPRBlocks: 59
; NumSGPRsForWavesPerEU: 22
; NumVGPRsForWavesPerEU: 238
; Occupancy: 1
; WaveLimiterHint : 1
; COMPUTE_PGM_RSRC2:SCRATCH_EN: 0
; COMPUTE_PGM_RSRC2:USER_SGPR: 6
; COMPUTE_PGM_RSRC2:TRAP_HANDLER: 0
; COMPUTE_PGM_RSRC2:TGID_X_EN: 1
; COMPUTE_PGM_RSRC2:TGID_Y_EN: 0
; COMPUTE_PGM_RSRC2:TGID_Z_EN: 0
; COMPUTE_PGM_RSRC2:TIDIG_COMP_CNT: 0
	.type	__hip_cuid_630d7f9b871cb113,@object ; @__hip_cuid_630d7f9b871cb113
	.section	.bss,"aw",@nobits
	.globl	__hip_cuid_630d7f9b871cb113
__hip_cuid_630d7f9b871cb113:
	.byte	0                               ; 0x0
	.size	__hip_cuid_630d7f9b871cb113, 1

	.ident	"AMD clang version 19.0.0git (https://github.com/RadeonOpenCompute/llvm-project roc-6.4.0 25133 c7fe45cf4b819c5991fe208aaa96edf142730f1d)"
	.section	".note.GNU-stack","",@progbits
	.addrsig
	.addrsig_sym __hip_cuid_630d7f9b871cb113
	.amdgpu_metadata
---
amdhsa.kernels:
  - .args:
      - .actual_access:  read_only
        .address_space:  global
        .offset:         0
        .size:           8
        .value_kind:     global_buffer
      - .actual_access:  read_only
        .address_space:  global
        .offset:         8
        .size:           8
        .value_kind:     global_buffer
      - .actual_access:  read_only
        .address_space:  global
        .offset:         16
        .size:           8
        .value_kind:     global_buffer
      - .actual_access:  read_only
        .address_space:  global
        .offset:         24
        .size:           8
        .value_kind:     global_buffer
      - .actual_access:  read_only
        .address_space:  global
        .offset:         32
        .size:           8
        .value_kind:     global_buffer
      - .offset:         40
        .size:           8
        .value_kind:     by_value
      - .address_space:  global
        .offset:         48
        .size:           8
        .value_kind:     global_buffer
      - .address_space:  global
        .offset:         56
        .size:           8
        .value_kind:     global_buffer
      - .address_space:  global
        .offset:         64
        .size:           8
        .value_kind:     global_buffer
      - .address_space:  global
        .offset:         72
        .size:           8
        .value_kind:     global_buffer
      - .offset:         80
        .size:           4
        .value_kind:     by_value
      - .address_space:  global
        .offset:         88
        .size:           8
        .value_kind:     global_buffer
      - .address_space:  global
        .offset:         96
        .size:           8
        .value_kind:     global_buffer
    .group_segment_fixed_size: 16016
    .kernarg_segment_align: 8
    .kernarg_segment_size: 104
    .language:       OpenCL C
    .language_version:
      - 2
      - 0
    .max_flat_workgroup_size: 182
    .name:           bluestein_single_back_len1001_dim1_sp_op_CI_CI
    .private_segment_fixed_size: 0
    .sgpr_count:     22
    .sgpr_spill_count: 0
    .symbol:         bluestein_single_back_len1001_dim1_sp_op_CI_CI.kd
    .uniform_work_group_size: 1
    .uses_dynamic_stack: false
    .vgpr_count:     238
    .vgpr_spill_count: 0
    .wavefront_size: 64
amdhsa.target:   amdgcn-amd-amdhsa--gfx906
amdhsa.version:
  - 1
  - 2
...

	.end_amdgpu_metadata
